;; amdgpu-corpus repo=ROCm/rocFFT kind=compiled arch=gfx1030 opt=O3
	.text
	.amdgcn_target "amdgcn-amd-amdhsa--gfx1030"
	.amdhsa_code_object_version 6
	.protected	bluestein_single_back_len1170_dim1_dp_op_CI_CI ; -- Begin function bluestein_single_back_len1170_dim1_dp_op_CI_CI
	.globl	bluestein_single_back_len1170_dim1_dp_op_CI_CI
	.p2align	8
	.type	bluestein_single_back_len1170_dim1_dp_op_CI_CI,@function
bluestein_single_back_len1170_dim1_dp_op_CI_CI: ; @bluestein_single_back_len1170_dim1_dp_op_CI_CI
; %bb.0:
	s_load_dwordx4 s[8:11], s[4:5], 0x28
	v_mul_u32_u24_e32 v1, 0x231, v0
	s_mov_b64 s[54:55], s[2:3]
	s_mov_b64 s[52:53], s[0:1]
	v_mov_b32_e32 v3, 0
	s_add_u32 s52, s52, s7
	v_lshrrev_b32_e32 v1, 16, v1
	s_addc_u32 s53, s53, 0
	s_mov_b32 s0, exec_lo
	v_add_nc_u32_e32 v2, s6, v1
	s_waitcnt lgkmcnt(0)
	v_cmpx_gt_u64_e64 s[8:9], v[2:3]
	s_cbranch_execz .LBB0_26
; %bb.1:
	s_clause 0x1
	s_load_dwordx4 s[0:3], s[4:5], 0x18
	s_load_dwordx4 s[12:15], s[4:5], 0x0
	v_mul_lo_u16 v1, 0x75, v1
	v_mov_b32_e32 v16, v2
                                        ; implicit-def: $vgpr128_vgpr129
                                        ; implicit-def: $vgpr132_vgpr133
                                        ; implicit-def: $vgpr136_vgpr137
	v_sub_nc_u16 v0, v0, v1
	v_mov_b32_e32 v15, v16
	v_and_b32_e32 v81, 0xffff, v0
	v_lshlrev_b32_e32 v236, 4, v81
	s_waitcnt lgkmcnt(0)
	s_load_dwordx4 s[16:19], s[0:1], 0x0
	s_clause 0x1
	global_load_dwordx4 v[82:85], v236, s[12:13]
	global_load_dwordx4 v[86:89], v236, s[12:13] offset:1872
	v_add_co_u32 v17, s0, s12, v236
	v_add_co_ci_u32_e64 v18, null, s13, 0, s0
	v_add_co_u32 v1, vcc_lo, 0x2000, v17
	v_add_co_ci_u32_e32 v2, vcc_lo, 0, v18, vcc_lo
	v_add_co_u32 v3, vcc_lo, 0x2800, v17
	v_add_co_ci_u32_e32 v4, vcc_lo, 0, v18, vcc_lo
	;; [unrolled: 2-line block ×3, first 2 shown]
	s_waitcnt lgkmcnt(0)
	v_mad_u64_u32 v[9:10], null, s18, v16, 0
	buffer_store_dword v15, off, s[52:55], 0 offset:36 ; 4-byte Folded Spill
	buffer_store_dword v16, off, s[52:55], 0 offset:40 ; 4-byte Folded Spill
	v_add_co_u32 v7, vcc_lo, 0x3000, v17
	v_add_co_ci_u32_e32 v8, vcc_lo, 0, v18, vcc_lo
	v_add_co_u32 v11, vcc_lo, 0x1000, v17
	v_mad_u64_u32 v[13:14], null, s16, v81, 0
	global_load_dwordx4 v[118:121], v[1:2], off offset:1168
	v_add_co_ci_u32_e32 v12, vcc_lo, 0, v18, vcc_lo
	v_add_co_u32 v33, vcc_lo, 0x3800, v17
	v_add_co_ci_u32_e32 v34, vcc_lo, 0, v18, vcc_lo
	v_add_co_u32 v37, vcc_lo, 0x1800, v17
	;; [unrolled: 2-line block ×3, first 2 shown]
	v_add_co_ci_u32_e32 v40, vcc_lo, 0, v18, vcc_lo
	s_clause 0x2
	global_load_dwordx4 v[102:105], v[3:4], off offset:992
	global_load_dwordx4 v[94:97], v[5:6], off offset:1696
	;; [unrolled: 1-line block ×3, first 2 shown]
	s_mul_i32 s0, s17, 0x2490
	s_mul_hi_u32 s1, s16, 0x2490
	s_mul_i32 s6, s16, 0x2490
	s_add_i32 s1, s1, s0
	s_mul_hi_u32 s8, s16, 0xffffe2c0
	s_mul_i32 s7, s17, 0xffffe2c0
	s_mul_i32 s9, s16, 0xffffe2c0
	s_sub_i32 s0, s8, s16
	global_load_dwordx4 v[98:101], v[11:12], off offset:1520
	s_add_i32 s0, s0, s7
	v_mad_u64_u32 v[15:16], null, s19, v16, v[10:11]
	v_mad_u64_u32 v[1:2], null, s17, v81, v[14:15]
	v_mov_b32_e32 v10, v15
	v_mov_b32_e32 v14, v1
	v_lshlrev_b64 v[1:2], 4, v[9:10]
	v_lshlrev_b64 v[3:4], 4, v[13:14]
	v_add_co_u32 v1, vcc_lo, s10, v1
	v_add_co_ci_u32_e32 v2, vcc_lo, s11, v2, vcc_lo
	v_add_co_u32 v1, vcc_lo, v1, v3
	v_add_co_ci_u32_e32 v2, vcc_lo, v2, v4, vcc_lo
	v_add_co_u32 v5, vcc_lo, v1, s6
	v_add_co_ci_u32_e32 v6, vcc_lo, s1, v2, vcc_lo
	v_add_co_u32 v9, vcc_lo, v5, s9
	v_add_co_ci_u32_e32 v10, vcc_lo, s0, v6, vcc_lo
	s_clause 0x1
	global_load_dwordx4 v[1:4], v[1:2], off
	global_load_dwordx4 v[5:8], v[5:6], off
	v_add_co_u32 v13, vcc_lo, v9, s6
	v_add_co_ci_u32_e32 v14, vcc_lo, s1, v10, vcc_lo
	v_add_co_u32 v17, vcc_lo, v13, s9
	v_add_co_ci_u32_e32 v18, vcc_lo, s0, v14, vcc_lo
	s_clause 0x1
	global_load_dwordx4 v[9:12], v[9:10], off
	global_load_dwordx4 v[13:16], v[13:14], off
	v_add_co_u32 v21, vcc_lo, v17, s6
	v_add_co_ci_u32_e32 v22, vcc_lo, s1, v18, vcc_lo
	global_load_dwordx4 v[17:20], v[17:18], off
	v_add_co_u32 v25, vcc_lo, v21, s9
	v_add_co_ci_u32_e32 v26, vcc_lo, s0, v22, vcc_lo
	;; [unrolled: 3-line block ×5, first 2 shown]
	global_load_dwordx4 v[106:109], v[33:34], off offset:640
	global_load_dwordx4 v[33:36], v[35:36], off
	s_clause 0x1
	global_load_dwordx4 v[110:113], v[37:38], off offset:1344
	global_load_dwordx4 v[114:117], v[39:40], off offset:464
	global_load_dwordx4 v[37:40], v[41:42], off
	v_add_co_u32 v255, s1, 0x75, v81
	v_cmp_gt_u16_e64 s0, 0x5a, v0
	v_add_co_ci_u32_e64 v0, null, 0, 0, s1
	v_add_co_u32 v198, s1, 0xea, v81
	v_add_co_ci_u32_e64 v0, null, 0, 0, s1
	v_add_co_u32 v0, s1, 0x15f, v81
	s_waitcnt vmcnt(12)
	v_mul_f64 v[41:42], v[3:4], v[84:85]
	s_waitcnt vmcnt(11)
	v_mul_f64 v[45:46], v[7:8], v[120:121]
	v_mul_f64 v[43:44], v[1:2], v[84:85]
	;; [unrolled: 1-line block ×3, first 2 shown]
	s_waitcnt vmcnt(10)
	v_mul_f64 v[49:50], v[11:12], v[88:89]
	s_waitcnt vmcnt(9)
	v_mul_f64 v[53:54], v[15:16], v[104:105]
	v_mul_f64 v[51:52], v[9:10], v[88:89]
	;; [unrolled: 1-line block ×3, first 2 shown]
	s_waitcnt vmcnt(8)
	v_mul_f64 v[57:58], v[19:20], v[96:97]
	v_mul_f64 v[59:60], v[17:18], v[96:97]
	s_waitcnt vmcnt(7)
	v_mul_f64 v[61:62], v[23:24], v[92:93]
	v_fma_f64 v[1:2], v[1:2], v[82:83], v[41:42]
	buffer_store_dword v82, off, s[52:55], 0 offset:44 ; 4-byte Folded Spill
	buffer_store_dword v83, off, s[52:55], 0 offset:48 ; 4-byte Folded Spill
	;; [unrolled: 1-line block ×4, first 2 shown]
	v_fma_f64 v[5:6], v[5:6], v[118:119], v[45:46]
	buffer_store_dword v118, off, s[52:55], 0 offset:188 ; 4-byte Folded Spill
	buffer_store_dword v119, off, s[52:55], 0 offset:192 ; 4-byte Folded Spill
	;; [unrolled: 1-line block ×4, first 2 shown]
	s_waitcnt vmcnt(6)
	v_mul_f64 v[65:66], v[27:28], v[100:101]
	v_mul_f64 v[63:64], v[21:22], v[92:93]
	v_mul_f64 v[67:68], v[25:26], v[100:101]
	s_waitcnt vmcnt(4)
	v_mul_f64 v[69:70], v[31:32], v[108:109]
	v_fma_f64 v[9:10], v[9:10], v[86:87], v[49:50]
	s_waitcnt vmcnt(2)
	v_mul_f64 v[73:74], v[35:36], v[112:113]
	buffer_store_dword v86, off, s[52:55], 0 offset:60 ; 4-byte Folded Spill
	buffer_store_dword v87, off, s[52:55], 0 offset:64 ; 4-byte Folded Spill
	;; [unrolled: 1-line block ×4, first 2 shown]
	s_waitcnt vmcnt(0)
	v_mul_f64 v[77:78], v[39:40], v[116:117]
	v_fma_f64 v[13:14], v[13:14], v[102:103], v[53:54]
	buffer_store_dword v102, off, s[52:55], 0 offset:124 ; 4-byte Folded Spill
	buffer_store_dword v103, off, s[52:55], 0 offset:128 ; 4-byte Folded Spill
	;; [unrolled: 1-line block ×4, first 2 shown]
	v_fma_f64 v[17:18], v[17:18], v[94:95], v[57:58]
	buffer_store_dword v94, off, s[52:55], 0 offset:92 ; 4-byte Folded Spill
	buffer_store_dword v95, off, s[52:55], 0 offset:96 ; 4-byte Folded Spill
	;; [unrolled: 1-line block ×4, first 2 shown]
	v_mul_f64 v[71:72], v[29:30], v[108:109]
	v_mul_f64 v[75:76], v[33:34], v[112:113]
	v_fma_f64 v[21:22], v[21:22], v[90:91], v[61:62]
	buffer_store_dword v90, off, s[52:55], 0 offset:76 ; 4-byte Folded Spill
	buffer_store_dword v91, off, s[52:55], 0 offset:80 ; 4-byte Folded Spill
	;; [unrolled: 1-line block ×4, first 2 shown]
	v_mul_f64 v[79:80], v[37:38], v[116:117]
	v_fma_f64 v[25:26], v[25:26], v[98:99], v[65:66]
	buffer_store_dword v98, off, s[52:55], 0 offset:108 ; 4-byte Folded Spill
	buffer_store_dword v99, off, s[52:55], 0 offset:112 ; 4-byte Folded Spill
	buffer_store_dword v100, off, s[52:55], 0 offset:116 ; 4-byte Folded Spill
	buffer_store_dword v101, off, s[52:55], 0 offset:120 ; 4-byte Folded Spill
	v_fma_f64 v[29:30], v[29:30], v[106:107], v[69:70]
	buffer_store_dword v106, off, s[52:55], 0 offset:140 ; 4-byte Folded Spill
	buffer_store_dword v107, off, s[52:55], 0 offset:144 ; 4-byte Folded Spill
	buffer_store_dword v108, off, s[52:55], 0 offset:148 ; 4-byte Folded Spill
	buffer_store_dword v109, off, s[52:55], 0 offset:152 ; 4-byte Folded Spill
	;; [unrolled: 5-line block ×4, first 2 shown]
	s_load_dwordx4 s[8:11], s[2:3], 0x0
	s_load_dwordx2 s[2:3], s[4:5], 0x38
	v_fma_f64 v[3:4], v[3:4], v[82:83], -v[43:44]
	v_fma_f64 v[7:8], v[7:8], v[118:119], -v[47:48]
	;; [unrolled: 1-line block ×10, first 2 shown]
	ds_write_b128 v236, v[1:4]
	ds_write_b128 v236, v[5:8] offset:9360
	ds_write_b128 v236, v[9:12] offset:1872
	;; [unrolled: 1-line block ×9, first 2 shown]
	s_waitcnt lgkmcnt(0)
	s_waitcnt_vscnt null, 0x0
	s_barrier
	buffer_gl0_inv
	ds_read_b128 v[1:4], v236 offset:9360
	ds_read_b128 v[5:8], v236
	ds_read_b128 v[9:12], v236 offset:1872
	ds_read_b128 v[13:16], v236 offset:11232
	;; [unrolled: 1-line block ×8, first 2 shown]
	s_waitcnt lgkmcnt(8)
	v_add_f64 v[92:93], v[5:6], -v[1:2]
	v_add_f64 v[94:95], v[7:8], -v[3:4]
	s_waitcnt lgkmcnt(6)
	v_add_f64 v[96:97], v[9:10], -v[13:14]
	v_add_f64 v[98:99], v[11:12], -v[15:16]
	;; [unrolled: 3-line block ×5, first 2 shown]
	v_add_co_ci_u32_e64 v1, null, 0, 0, s1
	buffer_store_dword v1, off, s[52:55], 0 offset:268 ; 4-byte Folded Spill
	buffer_store_dword v81, off, s[52:55], 0 ; 4-byte Folded Spill
	v_lshlrev_b32_e32 v3, 5, v81
	v_lshlrev_b32_e32 v2, 5, v255
	;; [unrolled: 1-line block ×3, first 2 shown]
	buffer_store_dword v0, off, s[52:55], 0 offset:20 ; 4-byte Folded Spill
	v_lshlrev_b32_e32 v0, 5, v0
	s_waitcnt_vscnt null, 0x0
	v_fma_f64 v[88:89], v[5:6], 2.0, -v[92:93]
	v_fma_f64 v[90:91], v[7:8], 2.0, -v[94:95]
	;; [unrolled: 1-line block ×10, first 2 shown]
	s_barrier
	buffer_gl0_inv
	ds_write_b128 v3, v[92:95] offset:16
	ds_write_b128 v3, v[88:91]
	ds_write_b128 v2, v[112:115]
	buffer_store_dword v2, off, s[52:55], 0 offset:220 ; 4-byte Folded Spill
	ds_write_b128 v2, v[96:99] offset:16
	ds_write_b128 v1, v[116:119]
	buffer_store_dword v1, off, s[52:55], 0 offset:4 ; 4-byte Folded Spill
	ds_write_b128 v1, v[100:103] offset:16
	;; [unrolled: 3-line block ×3, first 2 shown]
	ds_write_b128 v3, v[124:127] offset:14976
	buffer_store_dword v3, off, s[52:55], 0 offset:12 ; 4-byte Folded Spill
	ds_write_b128 v3, v[108:111] offset:14992
	s_waitcnt lgkmcnt(0)
	s_waitcnt_vscnt null, 0x0
	s_barrier
	buffer_gl0_inv
	s_and_saveexec_b32 s1, s0
	s_cbranch_execz .LBB0_3
; %bb.2:
	ds_read_b128 v[88:91], v236
	ds_read_b128 v[92:95], v236 offset:1440
	ds_read_b128 v[112:115], v236 offset:2880
	;; [unrolled: 1-line block ×12, first 2 shown]
.LBB0_3:
	s_or_b32 exec_lo, exec_lo, s1
	buffer_load_dword v201, off, s[52:55], 0 ; 4-byte Folded Reload
	s_mov_b32 s26, 0x42a4c3d2
	s_mov_b32 s27, 0xbfea55e2
	;; [unrolled: 1-line block ×36, first 2 shown]
	s_waitcnt vmcnt(0)
	v_and_b32_e32 v0, 1, v201
	buffer_store_dword v0, off, s[52:55], 0 offset:204 ; 4-byte Folded Spill
	v_mul_u32_u24_e32 v0, 12, v0
	v_lshlrev_b32_e32 v0, 4, v0
	s_clause 0xb
	global_load_dwordx4 v[44:47], v0, s[14:15]
	global_load_dwordx4 v[72:75], v0, s[14:15] offset:176
	global_load_dwordx4 v[68:71], v0, s[14:15] offset:16
	;; [unrolled: 1-line block ×11, first 2 shown]
	s_waitcnt vmcnt(11) lgkmcnt(11)
	v_mul_f64 v[0:1], v[92:93], v[46:47]
	s_waitcnt vmcnt(10) lgkmcnt(0)
	v_mul_f64 v[2:3], v[136:137], v[74:75]
	v_mul_f64 v[4:5], v[94:95], v[46:47]
	;; [unrolled: 1-line block ×3, first 2 shown]
	s_waitcnt vmcnt(9)
	v_mul_f64 v[8:9], v[114:115], v[70:71]
	v_mul_f64 v[10:11], v[112:113], v[70:71]
	s_waitcnt vmcnt(8)
	v_mul_f64 v[12:13], v[132:133], v[78:79]
	s_waitcnt vmcnt(5)
	v_mul_f64 v[18:19], v[102:103], v[66:67]
	v_mul_f64 v[14:15], v[96:97], v[58:59]
	v_mul_f64 v[16:17], v[118:119], v[54:55]
	s_waitcnt vmcnt(4)
	v_mul_f64 v[20:21], v[122:123], v[50:51]
	v_fma_f64 v[26:27], v[94:95], v[44:45], v[0:1]
	v_fma_f64 v[202:203], v[138:139], v[72:73], v[2:3]
	v_mul_f64 v[0:1], v[134:135], v[78:79]
	v_fma_f64 v[28:29], v[92:93], v[44:45], -v[4:5]
	v_mul_f64 v[4:5], v[116:117], v[54:55]
	v_fma_f64 v[92:93], v[136:137], v[72:73], -v[6:7]
	v_fma_f64 v[136:137], v[112:113], v[68:69], -v[8:9]
	v_fma_f64 v[138:139], v[114:115], v[68:69], v[10:11]
	v_fma_f64 v[112:113], v[134:135], v[76:77], v[12:13]
	v_mul_f64 v[6:7], v[100:101], v[66:67]
	v_mul_f64 v[2:3], v[98:99], v[58:59]
	s_waitcnt vmcnt(3)
	v_mul_f64 v[10:11], v[104:105], v[42:43]
	v_fma_f64 v[146:147], v[98:99], v[56:57], v[14:15]
	s_waitcnt vmcnt(2)
	v_mul_f64 v[12:13], v[130:131], v[82:83]
	v_mul_f64 v[8:9], v[120:121], v[50:51]
	v_fma_f64 v[134:135], v[116:117], v[52:53], -v[16:17]
	s_waitcnt vmcnt(1)
	v_mul_f64 v[14:15], v[124:125], v[62:63]
	v_fma_f64 v[116:117], v[120:121], v[48:49], -v[20:21]
	v_add_f64 v[30:31], v[26:27], -v[202:203]
	v_fma_f64 v[114:115], v[132:133], v[76:77], -v[0:1]
	v_fma_f64 v[132:133], v[100:101], v[64:65], -v[18:19]
	v_fma_f64 v[144:145], v[118:119], v[52:53], v[4:5]
	v_mul_f64 v[4:5], v[126:127], v[62:63]
	v_mul_f64 v[0:1], v[106:107], v[42:43]
	v_add_f64 v[34:35], v[28:29], v[92:93]
	v_add_f64 v[100:101], v[138:139], -v[112:113]
	v_fma_f64 v[142:143], v[102:103], v[64:65], v[6:7]
	v_fma_f64 v[140:141], v[96:97], v[56:57], -v[2:3]
	v_mul_f64 v[2:3], v[128:129], v[82:83]
	s_waitcnt vmcnt(0)
	v_mul_f64 v[6:7], v[110:111], v[86:87]
	v_add_f64 v[247:248], v[28:29], -v[92:93]
	v_fma_f64 v[158:159], v[106:107], v[40:41], v[10:11]
	v_add_f64 v[38:39], v[26:27], v[202:203]
	v_fma_f64 v[96:97], v[128:129], v[80:81], -v[12:13]
	v_add_f64 v[164:165], v[138:139], v[112:113]
	v_fma_f64 v[118:119], v[122:123], v[48:49], v[8:9]
	v_fma_f64 v[160:161], v[126:127], v[60:61], v[14:15]
	v_mul_f64 v[32:33], v[30:31], s[6:7]
	v_add_f64 v[102:103], v[136:137], v[114:115]
	v_add_f64 v[166:167], v[136:137], -v[114:115]
	v_mul_f64 v[249:250], v[30:31], s[26:27]
	v_fma_f64 v[150:151], v[124:125], v[60:61], -v[4:5]
	v_fma_f64 v[148:149], v[104:105], v[40:41], -v[0:1]
	v_mul_f64 v[0:1], v[108:109], v[86:87]
	v_mul_f64 v[4:5], v[100:101], s[26:27]
	;; [unrolled: 1-line block ×4, first 2 shown]
	v_fma_f64 v[98:99], v[130:131], v[80:81], v[2:3]
	v_fma_f64 v[106:107], v[108:109], v[84:85], -v[6:7]
	v_mul_f64 v[36:37], v[247:248], s[6:7]
	v_mul_f64 v[251:252], v[247:248], s[26:27]
	;; [unrolled: 1-line block ×3, first 2 shown]
	v_add_f64 v[174:175], v[140:141], -v[96:97]
	v_mul_f64 v[192:193], v[247:248], s[24:25]
	v_add_f64 v[186:187], v[118:119], -v[158:159]
	v_add_f64 v[178:179], v[142:143], -v[160:161]
	v_add_f64 v[188:189], v[142:143], v[160:161]
	v_add_f64 v[190:191], v[118:119], v[158:159]
	v_mul_f64 v[194:195], v[30:31], s[22:23]
	v_fma_f64 v[2:3], v[34:35], s[4:5], v[32:33]
	buffer_store_dword v4, off, s[52:55], 0 offset:252 ; 4-byte Folded Spill
	buffer_store_dword v5, off, s[52:55], 0 offset:256 ; 4-byte Folded Spill
	v_fma_f64 v[108:109], v[110:111], v[84:85], v[0:1]
	v_mul_f64 v[208:209], v[166:167], s[26:27]
	v_add_f64 v[156:157], v[146:147], -v[98:99]
	v_add_f64 v[110:111], v[140:141], v[96:97]
	v_add_f64 v[172:173], v[146:147], v[98:99]
	;; [unrolled: 1-line block ×3, first 2 shown]
	v_add_f64 v[184:185], v[134:135], -v[106:107]
	v_add_f64 v[104:105], v[132:133], v[150:151]
	v_add_f64 v[182:183], v[132:133], -v[150:151]
	v_add_f64 v[170:171], v[116:117], v[148:149]
	v_mul_f64 v[222:223], v[178:179], s[46:47]
	v_mul_f64 v[234:235], v[186:187], s[36:37]
	v_add_f64 v[180:181], v[116:117], -v[148:149]
	v_mul_f64 v[243:244], v[166:167], s[22:23]
	v_add_f64 v[2:3], v[88:89], v[2:3]
	v_mul_f64 v[245:246], v[174:175], s[36:37]
	v_mul_f64 v[226:227], v[178:179], s[34:35]
	;; [unrolled: 1-line block ×7, first 2 shown]
	v_add_f64 v[168:169], v[144:145], -v[108:109]
	v_add_f64 v[176:177], v[144:145], v[108:109]
	v_mul_f64 v[210:211], v[156:157], s[24:25]
	v_mul_f64 v[239:240], v[156:157], s[36:37]
	;; [unrolled: 1-line block ×18, first 2 shown]
	v_fma_f64 v[12:13], v[164:165], s[28:29], -v[16:17]
	v_fma_f64 v[0:1], v[102:103], s[18:19], v[4:5]
	v_fma_f64 v[4:5], v[164:165], s[18:19], -v[208:209]
	v_add_f64 v[0:1], v[0:1], v[2:3]
	v_fma_f64 v[2:3], v[38:39], s[4:5], -v[36:37]
	v_add_f64 v[2:3], v[90:91], v[2:3]
	v_add_f64 v[2:3], v[4:5], v[2:3]
	v_fma_f64 v[4:5], v[110:111], s[20:21], v[210:211]
	v_add_f64 v[4:5], v[4:5], v[0:1]
	v_mul_f64 v[0:1], v[174:175], s[24:25]
	v_fma_f64 v[6:7], v[172:173], s[20:21], -v[0:1]
	v_add_f64 v[2:3], v[6:7], v[2:3]
	v_fma_f64 v[6:7], v[162:163], s[16:17], v[8:9]
	v_add_f64 v[4:5], v[6:7], v[4:5]
	v_fma_f64 v[6:7], v[176:177], s[16:17], -v[18:19]
	v_add_f64 v[2:3], v[6:7], v[2:3]
	v_fma_f64 v[6:7], v[104:105], s[28:29], v[222:223]
	v_add_f64 v[4:5], v[6:7], v[4:5]
	;; [unrolled: 4-line block ×3, first 2 shown]
	v_fma_f64 v[4:5], v[190:191], s[30:31], -v[24:25]
	v_fma_f64 v[6:7], v[164:165], s[16:17], -v[243:244]
	v_add_f64 v[154:155], v[4:5], v[2:3]
	v_fma_f64 v[2:3], v[34:35], s[18:19], v[249:250]
	v_fma_f64 v[4:5], v[102:103], s[16:17], v[228:229]
	v_add_f64 v[2:3], v[88:89], v[2:3]
	v_add_f64 v[2:3], v[4:5], v[2:3]
	v_fma_f64 v[4:5], v[38:39], s[18:19], -v[251:252]
	v_add_f64 v[4:5], v[90:91], v[4:5]
	v_add_f64 v[4:5], v[6:7], v[4:5]
	v_fma_f64 v[6:7], v[110:111], s[30:31], v[239:240]
	v_add_f64 v[2:3], v[6:7], v[2:3]
	v_fma_f64 v[6:7], v[172:173], s[30:31], -v[245:246]
	v_add_f64 v[4:5], v[6:7], v[4:5]
	v_fma_f64 v[6:7], v[162:163], s[28:29], v[224:225]
	v_add_f64 v[2:3], v[6:7], v[2:3]
	v_fma_f64 v[6:7], v[176:177], s[28:29], -v[230:231]
	;; [unrolled: 4-line block ×4, first 2 shown]
	v_fma_f64 v[6:7], v[164:165], s[30:31], -v[232:233]
	v_add_f64 v[126:127], v[2:3], v[4:5]
	v_fma_f64 v[2:3], v[34:35], s[20:21], v[253:254]
	v_fma_f64 v[4:5], v[102:103], s[30:31], v[22:23]
	v_add_f64 v[2:3], v[88:89], v[2:3]
	v_add_f64 v[2:3], v[4:5], v[2:3]
	v_fma_f64 v[4:5], v[38:39], s[20:21], -v[192:193]
	v_add_f64 v[4:5], v[90:91], v[4:5]
	v_add_f64 v[4:5], v[6:7], v[4:5]
	v_fma_f64 v[6:7], v[110:111], s[16:17], v[214:215]
	v_add_f64 v[2:3], v[6:7], v[2:3]
	v_fma_f64 v[6:7], v[172:173], s[16:17], -v[220:221]
	v_add_f64 v[4:5], v[6:7], v[4:5]
	v_fma_f64 v[6:7], v[162:163], s[4:5], v[14:15]
	v_add_f64 v[2:3], v[6:7], v[2:3]
	v_fma_f64 v[6:7], v[176:177], s[4:5], -v[218:219]
	;; [unrolled: 4-line block ×3, first 2 shown]
	v_add_f64 v[4:5], v[6:7], v[4:5]
	v_fma_f64 v[6:7], v[170:171], s[28:29], v[206:207]
	v_add_f64 v[128:129], v[6:7], v[2:3]
	v_mul_f64 v[2:3], v[180:181], s[46:47]
	buffer_store_dword v2, off, s[52:55], 0 offset:228 ; 4-byte Folded Spill
	buffer_store_dword v3, off, s[52:55], 0 offset:232 ; 4-byte Folded Spill
	;; [unrolled: 1-line block ×4, first 2 shown]
	v_fma_f64 v[2:3], v[190:191], s[28:29], -v[2:3]
	v_add_f64 v[130:131], v[2:3], v[4:5]
	v_fma_f64 v[2:3], v[34:35], s[16:17], v[194:195]
	v_mul_f64 v[4:5], v[100:101], s[44:45]
	v_add_f64 v[2:3], v[88:89], v[2:3]
	v_fma_f64 v[6:7], v[102:103], s[28:29], v[4:5]
	v_add_f64 v[2:3], v[6:7], v[2:3]
	v_fma_f64 v[6:7], v[38:39], s[16:17], -v[196:197]
	v_add_f64 v[6:7], v[90:91], v[6:7]
	v_add_f64 v[120:121], v[12:13], v[6:7]
	v_mul_f64 v[6:7], v[156:157], s[40:41]
	v_fma_f64 v[12:13], v[110:111], s[4:5], v[6:7]
	v_add_f64 v[2:3], v[12:13], v[2:3]
	v_mul_f64 v[12:13], v[174:175], s[40:41]
	v_fma_f64 v[122:123], v[172:173], s[4:5], -v[12:13]
	v_add_f64 v[120:121], v[122:123], v[120:121]
	v_fma_f64 v[122:123], v[162:163], s[20:21], v[212:213]
	v_add_f64 v[122:123], v[122:123], v[2:3]
	v_mul_f64 v[2:3], v[184:185], s[24:25]
	v_fma_f64 v[199:200], v[176:177], s[20:21], -v[2:3]
	v_add_f64 v[120:121], v[199:200], v[120:121]
	v_fma_f64 v[199:200], v[104:105], s[30:31], v[94:95]
	v_mul_f64 v[94:95], v[182:183], s[42:43]
	buffer_store_dword v94, off, s[52:55], 0 offset:276 ; 4-byte Folded Spill
	buffer_store_dword v95, off, s[52:55], 0 offset:280 ; 4-byte Folded Spill
	v_add_f64 v[122:123], v[199:200], v[122:123]
	v_fma_f64 v[199:200], v[188:189], s[30:31], -v[94:95]
	v_mul_f64 v[94:95], v[186:187], s[48:49]
	buffer_store_dword v94, off, s[52:55], 0 offset:236 ; 4-byte Folded Spill
	buffer_store_dword v95, off, s[52:55], 0 offset:240 ; 4-byte Folded Spill
	v_add_f64 v[199:200], v[199:200], v[120:121]
	v_fma_f64 v[120:121], v[170:171], s[18:19], v[94:95]
	v_mul_f64 v[94:95], v[180:181], s[48:49]
	buffer_store_dword v94, off, s[52:55], 0 offset:244 ; 4-byte Folded Spill
	buffer_store_dword v95, off, s[52:55], 0 offset:248 ; 4-byte Folded Spill
	v_add_f64 v[120:121], v[120:121], v[122:123]
	s_waitcnt_vscnt null, 0x0
	s_barrier
	buffer_gl0_inv
	v_fma_f64 v[122:123], v[190:191], s[18:19], -v[94:95]
	v_lshrrev_b32_e32 v94, 1, v201
	buffer_store_dword v94, off, s[52:55], 0 offset:208 ; 4-byte Folded Spill
	v_add_f64 v[122:123], v[122:123], v[199:200]
	s_and_saveexec_b32 s1, s0
	s_cbranch_execz .LBB0_5
; %bb.4:
	buffer_store_dword v202, off, s[52:55], 0 offset:284 ; 4-byte Folded Spill
	buffer_store_dword v203, off, s[52:55], 0 offset:288 ; 4-byte Folded Spill
	;; [unrolled: 1-line block ×4, first 2 shown]
	v_mul_f64 v[199:200], v[38:39], s[30:31]
	v_mul_f64 v[203:204], v[38:39], s[28:29]
	buffer_store_dword v206, off, s[52:55], 0 offset:300 ; 4-byte Folded Spill
	buffer_store_dword v207, off, s[52:55], 0 offset:304 ; 4-byte Folded Spill
	v_add_f64 v[28:29], v[88:89], v[28:29]
	v_add_f64 v[26:27], v[90:91], v[26:27]
	v_fma_f64 v[201:202], v[247:248], s[42:43], v[199:200]
	v_fma_f64 v[199:200], v[247:248], s[36:37], v[199:200]
	;; [unrolled: 1-line block ×4, first 2 shown]
	v_mul_f64 v[247:248], v[38:39], s[16:17]
	v_add_f64 v[26:27], v[26:27], v[138:139]
	v_add_f64 v[28:29], v[28:29], v[136:137]
	v_mul_f64 v[136:137], v[172:173], s[16:17]
	v_add_f64 v[199:200], v[90:91], v[199:200]
	v_add_f64 v[94:95], v[90:91], v[94:95]
	;; [unrolled: 1-line block ×4, first 2 shown]
	v_mul_f64 v[247:248], v[34:35], s[16:17]
	v_add_f64 v[26:27], v[26:27], v[146:147]
	v_add_f64 v[28:29], v[28:29], v[140:141]
	v_mul_f64 v[140:141], v[110:111], s[16:17]
	v_add_f64 v[136:137], v[220:221], v[136:137]
	v_add_f64 v[196:197], v[90:91], v[196:197]
	v_add_f64 v[194:195], v[247:248], -v[194:195]
	v_mul_f64 v[247:248], v[38:39], s[20:21]
	v_add_f64 v[26:27], v[26:27], v[144:145]
	v_add_f64 v[28:29], v[28:29], v[134:135]
	v_add_f64 v[140:141], v[140:141], -v[214:215]
	v_mul_f64 v[134:135], v[176:177], s[4:5]
	v_add_f64 v[194:195], v[88:89], v[194:195]
	v_add_f64 v[192:193], v[192:193], v[247:248]
	v_mul_f64 v[247:248], v[34:35], s[20:21]
	v_add_f64 v[26:27], v[26:27], v[142:143]
	v_add_f64 v[28:29], v[28:29], v[132:133]
	;; [unrolled: 3-line block ×3, first 2 shown]
	v_add_f64 v[247:248], v[247:248], -v[253:254]
	v_mul_f64 v[253:254], v[38:39], s[18:19]
	v_mul_f64 v[38:39], v[38:39], s[4:5]
	v_add_f64 v[26:27], v[26:27], v[118:119]
	v_add_f64 v[28:29], v[28:29], v[116:117]
	v_add_f64 v[14:15], v[132:133], -v[14:15]
	v_mul_f64 v[132:133], v[104:105], s[18:19]
	v_mul_f64 v[116:117], v[188:189], s[18:19]
	v_add_f64 v[247:248], v[88:89], v[247:248]
	v_add_f64 v[251:252], v[251:252], v[253:254]
	;; [unrolled: 1-line block ×3, first 2 shown]
	v_mul_f64 v[38:39], v[30:31], s[36:37]
	v_mul_f64 v[30:31], v[30:31], s[46:47]
	;; [unrolled: 1-line block ×3, first 2 shown]
	v_add_f64 v[26:27], v[26:27], v[158:159]
	v_add_f64 v[28:29], v[28:29], v[148:149]
	v_add_f64 v[10:11], v[132:133], -v[10:11]
	v_add_f64 v[116:117], v[216:217], v[116:117]
	v_add_f64 v[251:252], v[90:91], v[251:252]
	;; [unrolled: 1-line block ×3, first 2 shown]
	v_fma_f64 v[205:206], v[34:35], s[28:29], v[30:31]
	v_add_f64 v[249:250], v[253:254], -v[249:250]
	v_fma_f64 v[253:254], v[34:35], s[30:31], v[38:39]
	v_fma_f64 v[38:39], v[34:35], s[30:31], -v[38:39]
	v_fma_f64 v[30:31], v[34:35], s[28:29], -v[30:31]
	v_mul_f64 v[34:35], v[34:35], s[4:5]
	v_add_f64 v[205:206], v[88:89], v[205:206]
	v_add_f64 v[249:250], v[88:89], v[249:250]
	buffer_store_dword v205, off, s[52:55], 0 offset:308 ; 4-byte Folded Spill
	buffer_store_dword v206, off, s[52:55], 0 offset:312 ; 4-byte Folded Spill
	s_clause 0x1
	buffer_load_dword v205, off, s[52:55], 0 offset:252
	buffer_load_dword v206, off, s[52:55], 0 offset:256
	v_add_f64 v[32:33], v[34:35], -v[32:33]
	v_add_f64 v[34:35], v[90:91], v[201:202]
	v_add_f64 v[201:202], v[88:89], v[253:254]
	;; [unrolled: 1-line block ×4, first 2 shown]
	v_mul_f64 v[90:91], v[102:103], s[18:19]
	v_add_f64 v[32:33], v[88:89], v[32:33]
	v_mul_f64 v[88:89], v[164:165], s[18:19]
	v_add_f64 v[88:89], v[208:209], v[88:89]
	;; [unrolled: 2-line block ×3, first 2 shown]
	v_add_f64 v[0:1], v[0:1], v[207:208]
	v_mul_f64 v[207:208], v[110:111], s[20:21]
	v_mul_f64 v[88:89], v[104:105], s[28:29]
	v_add_f64 v[0:1], v[0:1], v[36:37]
	v_add_f64 v[207:208], v[207:208], -v[210:211]
	v_mul_f64 v[209:210], v[176:177], s[16:17]
	v_add_f64 v[88:89], v[88:89], -v[222:223]
	v_mul_f64 v[222:223], v[176:177], s[18:19]
	v_mul_f64 v[36:37], v[170:171], s[30:31]
	v_add_f64 v[18:19], v[18:19], v[209:210]
	v_mul_f64 v[209:210], v[164:165], s[4:5]
	v_add_f64 v[36:37], v[36:37], -v[234:235]
	v_add_f64 v[0:1], v[18:19], v[0:1]
	v_fma_f64 v[253:254], v[166:167], s[6:7], v[209:210]
	v_mul_f64 v[18:19], v[176:177], s[28:29]
	v_add_f64 v[34:35], v[253:254], v[34:35]
	v_mul_f64 v[253:254], v[100:101], s[40:41]
	v_add_f64 v[18:19], v[230:231], v[18:19]
	v_mul_f64 v[100:101], v[100:101], s[34:35]
	s_waitcnt vmcnt(0)
	v_add_f64 v[90:91], v[90:91], -v[205:206]
	v_fma_f64 v[205:206], v[102:103], s[4:5], v[253:254]
	v_add_f64 v[32:33], v[90:91], v[32:33]
	v_add_f64 v[201:202], v[205:206], v[201:202]
	v_fma_f64 v[205:206], v[166:167], s[40:41], v[209:210]
	v_mul_f64 v[90:91], v[190:191], s[30:31]
	v_add_f64 v[32:33], v[207:208], v[32:33]
	v_mul_f64 v[207:208], v[172:173], s[30:31]
	v_add_f64 v[199:200], v[205:206], v[199:200]
	v_fma_f64 v[205:206], v[102:103], s[4:5], -v[253:254]
	v_add_f64 v[24:25], v[24:25], v[90:91]
	v_mul_f64 v[90:91], v[172:173], s[28:29]
	v_add_f64 v[207:208], v[245:246], v[207:208]
	v_add_f64 v[38:39], v[205:206], v[38:39]
	v_mul_f64 v[205:206], v[162:163], s[16:17]
	v_add_f64 v[8:9], v[205:206], -v[8:9]
	v_mul_f64 v[205:206], v[188:189], s[28:29]
	v_add_f64 v[8:9], v[8:9], v[32:33]
	v_mul_f64 v[32:33], v[162:163], s[28:29]
	v_add_f64 v[20:21], v[20:21], v[205:206]
	v_fma_f64 v[205:206], v[174:175], s[44:45], v[90:91]
	v_fma_f64 v[90:91], v[174:175], s[46:47], v[90:91]
	v_add_f64 v[8:9], v[88:89], v[8:9]
	v_add_f64 v[32:33], v[32:33], -v[224:225]
	v_mul_f64 v[224:225], v[104:105], s[20:21]
	v_add_f64 v[34:35], v[205:206], v[34:35]
	v_mul_f64 v[205:206], v[156:157], s[46:47]
	v_add_f64 v[90:91], v[90:91], v[199:200]
	v_add_f64 v[20:21], v[20:21], v[0:1]
	;; [unrolled: 1-line block ×3, first 2 shown]
	v_add_f64 v[224:225], v[224:225], -v[226:227]
	v_mul_f64 v[226:227], v[102:103], s[30:31]
	v_fma_f64 v[199:200], v[110:111], s[28:29], -v[205:206]
	v_fma_f64 v[209:210], v[110:111], s[28:29], v[205:206]
	v_mul_f64 v[205:206], v[102:103], s[16:17]
	v_add_f64 v[22:23], v[226:227], -v[22:23]
	v_add_f64 v[38:39], v[199:200], v[38:39]
	v_mul_f64 v[199:200], v[164:165], s[16:17]
	v_add_f64 v[201:202], v[209:210], v[201:202]
	v_add_f64 v[205:206], v[205:206], -v[228:229]
	v_mul_f64 v[209:210], v[110:111], s[30:31]
	v_fma_f64 v[228:229], v[184:185], s[26:27], v[222:223]
	v_fma_f64 v[222:223], v[184:185], s[48:49], v[222:223]
	v_add_f64 v[22:23], v[22:23], v[247:248]
	v_add_f64 v[199:200], v[243:244], v[199:200]
	;; [unrolled: 1-line block ×3, first 2 shown]
	v_add_f64 v[209:210], v[209:210], -v[239:240]
	v_add_f64 v[34:35], v[228:229], v[34:35]
	v_mul_f64 v[228:229], v[168:169], s[48:49]
	v_add_f64 v[90:91], v[222:223], v[90:91]
	v_add_f64 v[22:23], v[140:141], v[22:23]
	v_mul_f64 v[140:141], v[186:187], s[22:23]
	v_add_f64 v[199:200], v[199:200], v[251:252]
	v_add_f64 v[205:206], v[209:210], v[205:206]
	v_fma_f64 v[234:235], v[162:163], s[18:19], v[228:229]
	v_fma_f64 v[222:223], v[162:163], s[18:19], -v[228:229]
	v_add_f64 v[14:15], v[14:15], v[22:23]
	v_add_f64 v[22:23], v[26:27], v[160:161]
	;; [unrolled: 1-line block ×4, first 2 shown]
	v_mul_f64 v[28:29], v[164:165], s[20:21]
	v_add_f64 v[32:33], v[32:33], v[205:206]
	v_mul_f64 v[207:208], v[190:191], s[4:5]
	v_add_f64 v[201:202], v[234:235], v[201:202]
	v_add_f64 v[38:39], v[222:223], v[38:39]
	v_mul_f64 v[222:223], v[188:189], s[20:21]
	v_fma_f64 v[146:147], v[170:171], s[16:17], -v[140:141]
	v_fma_f64 v[140:141], v[170:171], s[16:17], v[140:141]
	v_add_f64 v[22:23], v[22:23], v[108:109]
	v_add_f64 v[26:27], v[26:27], v[106:107]
	;; [unrolled: 1-line block ×3, first 2 shown]
	v_mul_f64 v[199:200], v[188:189], s[16:17]
	v_fma_f64 v[132:133], v[166:167], s[24:25], v[28:29]
	v_mul_f64 v[106:107], v[172:173], s[18:19]
	v_fma_f64 v[28:29], v[166:167], s[34:35], v[28:29]
	v_add_f64 v[32:33], v[224:225], v[32:33]
	v_add_f64 v[222:223], v[237:238], v[222:223]
	;; [unrolled: 1-line block ×5, first 2 shown]
	s_clause 0x1
	buffer_load_dword v26, off, s[52:55], 0 offset:308
	buffer_load_dword v27, off, s[52:55], 0 offset:312
	v_fma_f64 v[205:206], v[182:183], s[38:39], v[199:200]
	v_add_f64 v[94:95], v[132:133], v[94:95]
	v_fma_f64 v[108:109], v[174:175], s[48:49], v[106:107]
	v_mul_f64 v[98:99], v[176:177], s[20:21]
	v_fma_f64 v[106:107], v[174:175], s[26:27], v[106:107]
	v_add_f64 v[28:29], v[28:29], v[203:204]
	v_add_f64 v[18:19], v[222:223], v[18:19]
	;; [unrolled: 1-line block ×5, first 2 shown]
	v_mul_f64 v[205:206], v[178:179], s[22:23]
	v_add_f64 v[88:89], v[108:109], v[94:95]
	v_mul_f64 v[94:95], v[176:177], s[30:31]
	v_add_f64 v[2:3], v[2:3], v[98:99]
	;; [unrolled: 2-line block ×3, first 2 shown]
	v_mul_f64 v[106:107], v[188:189], s[4:5]
	v_mul_f64 v[108:109], v[188:189], s[30:31]
	v_fma_f64 v[209:210], v[104:105], s[16:17], v[205:206]
	v_fma_f64 v[96:97], v[184:185], s[36:37], v[94:95]
	;; [unrolled: 1-line block ×3, first 2 shown]
	v_add_f64 v[201:202], v[209:210], v[201:202]
	v_mul_f64 v[209:210], v[164:165], s[30:31]
	v_add_f64 v[88:89], v[96:97], v[88:89]
	v_add_f64 v[28:29], v[94:95], v[28:29]
	v_mul_f64 v[94:95], v[190:191], s[28:29]
	v_mul_f64 v[96:97], v[186:187], s[34:35]
	v_add_f64 v[209:210], v[232:233], v[209:210]
	v_add_f64 v[138:139], v[209:210], v[192:193]
	;; [unrolled: 1-line block ×3, first 2 shown]
	v_mul_f64 v[138:139], v[190:191], s[18:19]
	v_add_f64 v[118:119], v[134:135], v[136:137]
	v_mul_f64 v[134:135], v[164:165], s[28:29]
	v_add_f64 v[116:117], v[116:117], v[118:119]
	v_add_f64 v[16:17], v[16:17], v[134:135]
	v_fma_f64 v[134:135], v[182:183], s[22:23], v[199:200]
	v_add_f64 v[16:17], v[16:17], v[196:197]
	v_add_f64 v[90:91], v[134:135], v[90:91]
	v_mul_f64 v[134:135], v[172:173], s[4:5]
	v_add_f64 v[12:13], v[12:13], v[134:135]
	v_fma_f64 v[134:135], v[102:103], s[20:21], v[100:101]
	v_fma_f64 v[100:101], v[102:103], s[20:21], -v[100:101]
	v_mul_f64 v[102:103], v[102:103], s[28:29]
	v_add_f64 v[12:13], v[12:13], v[16:17]
	v_fma_f64 v[16:17], v[162:163], s[30:31], v[98:99]
	v_add_f64 v[30:31], v[100:101], v[30:31]
	v_add_f64 v[4:5], v[102:103], -v[4:5]
	v_mul_f64 v[102:103], v[156:157], s[26:27]
	v_fma_f64 v[98:99], v[162:163], s[30:31], -v[98:99]
	v_mul_f64 v[100:101], v[162:163], s[20:21]
	v_add_f64 v[2:3], v[2:3], v[12:13]
	v_mul_f64 v[12:13], v[190:191], s[16:17]
	v_add_f64 v[4:5], v[4:5], v[194:195]
	v_fma_f64 v[132:133], v[110:111], s[18:19], v[102:103]
	v_fma_f64 v[102:103], v[110:111], s[18:19], -v[102:103]
	v_mul_f64 v[110:111], v[110:111], s[4:5]
	v_add_f64 v[100:101], v[100:101], -v[212:213]
	v_fma_f64 v[144:145], v[180:181], s[22:23], v[12:13]
	v_add_f64 v[6:7], v[110:111], -v[6:7]
	v_fma_f64 v[110:111], v[104:105], s[16:17], -v[205:206]
	s_waitcnt vmcnt(0)
	v_add_f64 v[26:27], v[134:135], v[26:27]
	s_clause 0x5
	buffer_load_dword v134, off, s[52:55], 0 offset:276
	buffer_load_dword v135, off, s[52:55], 0 offset:280
	;; [unrolled: 1-line block ×6, first 2 shown]
	v_add_f64 v[38:39], v[110:111], v[38:39]
	v_add_f64 v[4:5], v[6:7], v[4:5]
	;; [unrolled: 1-line block ×3, first 2 shown]
	v_mul_f64 v[110:111], v[178:179], s[40:41]
	v_mul_f64 v[30:31], v[104:105], s[30:31]
	;; [unrolled: 1-line block ×3, first 2 shown]
	v_add_f64 v[26:27], v[132:133], v[26:27]
	v_mul_f64 v[132:133], v[170:171], s[4:5]
	v_add_f64 v[4:5], v[100:101], v[4:5]
	v_add_f64 v[6:7], v[98:99], v[6:7]
	v_fma_f64 v[98:99], v[104:105], s[4:5], -v[110:111]
	v_fma_f64 v[104:105], v[104:105], s[4:5], v[110:111]
	v_mul_f64 v[100:101], v[170:171], s[18:19]
	v_fma_f64 v[110:111], v[170:171], s[20:21], v[96:97]
	v_fma_f64 v[96:97], v[170:171], s[20:21], -v[96:97]
	v_add_f64 v[16:17], v[16:17], v[26:27]
	v_fma_f64 v[26:27], v[182:183], s[6:7], v[106:107]
	v_fma_f64 v[106:107], v[182:183], s[40:41], v[106:107]
	v_add_f64 v[98:99], v[98:99], v[6:7]
	v_add_f64 v[104:105], v[104:105], v[16:17]
	;; [unrolled: 1-line block ×5, first 2 shown]
	s_waitcnt vmcnt(4)
	v_add_f64 v[108:109], v[134:135], v[108:109]
	v_mul_f64 v[134:135], v[170:171], s[28:29]
	s_waitcnt vmcnt(0)
	v_add_f64 v[132:133], v[132:133], -v[142:143]
	s_clause 0x5
	buffer_load_dword v142, off, s[52:55], 0 offset:228
	buffer_load_dword v143, off, s[52:55], 0 offset:232
	;; [unrolled: 1-line block ×6, first 2 shown]
	v_add_f64 v[30:31], v[30:31], -v[136:137]
	v_fma_f64 v[136:137], v[180:181], s[24:25], v[102:103]
	v_fma_f64 v[102:103], v[180:181], s[34:35], v[102:103]
	v_add_f64 v[108:109], v[108:109], v[2:3]
	v_add_f64 v[2:3], v[136:137], v[34:35]
	v_add_f64 v[6:7], v[102:103], v[90:91]
	s_waitcnt vmcnt(4)
	v_add_f64 v[94:95], v[142:143], v[94:95]
	v_fma_f64 v[142:143], v[180:181], s[38:39], v[12:13]
	s_waitcnt vmcnt(0)
	v_add_f64 v[106:107], v[0:1], v[138:139]
	s_clause 0x3
	buffer_load_dword v0, off, s[52:55], 0 offset:236
	buffer_load_dword v1, off, s[52:55], 0 offset:240
	;; [unrolled: 1-line block ×4, first 2 shown]
	v_add_f64 v[12:13], v[132:133], v[32:33]
	s_clause 0x1
	buffer_load_dword v32, off, s[52:55], 0 offset:208
	buffer_load_dword v37, off, s[52:55], 0 offset:204
	v_add_f64 v[118:119], v[134:135], -v[118:119]
	v_add_f64 v[134:135], v[10:11], v[14:15]
	v_add_f64 v[138:139], v[30:31], v[4:5]
	;; [unrolled: 1-line block ×10, first 2 shown]
	s_waitcnt vmcnt(4)
	v_add_f64 v[100:101], v[100:101], -v[0:1]
	s_waitcnt vmcnt(2)
	v_add_f64 v[22:23], v[112:113], v[16:17]
	v_add_f64 v[16:17], v[118:119], v[134:135]
	;; [unrolled: 1-line block ×3, first 2 shown]
	s_waitcnt vmcnt(1)
	v_mul_u32_u24_e32 v36, 26, v32
	v_add_f64 v[32:33], v[140:141], v[104:105]
	s_waitcnt vmcnt(0)
	v_or_b32_e32 v36, v36, v37
	v_lshlrev_b32_e32 v36, 4, v36
	v_add_f64 v[28:29], v[100:101], v[138:139]
	ds_write_b128 v36, v[20:23]
	ds_write_b128 v36, v[8:11] offset:32
	ds_write_b128 v36, v[12:15] offset:64
	;; [unrolled: 1-line block ×12, first 2 shown]
.LBB0_5:
	s_or_b32 exec_lo, exec_lo, s1
	s_waitcnt lgkmcnt(0)
	s_waitcnt_vscnt null, 0x0
	s_barrier
	buffer_gl0_inv
	ds_read_b128 v[136:139], v236
	ds_read_b128 v[132:135], v236 offset:1872
	ds_read_b128 v[160:163], v236 offset:12480
	ds_read_b128 v[144:147], v236 offset:14352
	ds_read_b128 v[168:171], v236 offset:6240
	ds_read_b128 v[140:143], v236 offset:3744
	ds_read_b128 v[164:167], v236 offset:8112
	ds_read_b128 v[148:151], v236 offset:9984
	ds_read_b128 v[156:159], v236 offset:16224
	buffer_load_dword v0, off, s[52:55], 0  ; 4-byte Folded Reload
	s_waitcnt vmcnt(0)
	v_cmp_gt_u16_e32 vcc_lo, 39, v0
	s_and_saveexec_b32 s1, vcc_lo
	s_cbranch_execz .LBB0_7
; %bb.6:
	ds_read_b128 v[120:123], v236 offset:5616
	ds_read_b128 v[128:131], v236 offset:11856
	;; [unrolled: 1-line block ×3, first 2 shown]
.LBB0_7:
	s_or_b32 exec_lo, exec_lo, s1
	s_clause 0x1
	buffer_load_dword v172, off, s[52:55], 0
	buffer_load_dword v4, off, s[52:55], 0 offset:20
	v_mov_b32_e32 v2, 0x4ec5
	v_and_b32_e32 v1, 0xff, v255
	s_mov_b32 s4, 0xe8584caa
	s_mov_b32 s5, 0x3febb67a
	;; [unrolled: 1-line block ×3, first 2 shown]
	v_mul_u32_u24_sdwa v3, v198, v2 dst_sel:DWORD dst_unused:UNUSED_PAD src0_sel:WORD_0 src1_sel:DWORD
	v_mul_lo_u16 v1, 0x4f, v1
	s_mov_b32 s6, s4
	v_mov_b32_e32 v182, 0x4e
	v_lshrrev_b32_e32 v176, 19, v3
	v_lshrrev_b16 v175, 11, v1
	v_mul_lo_u16 v1, v175, 26
	v_sub_nc_u16 v1, v255, v1
	v_and_b32_e32 v181, 0xff, v1
	s_waitcnt vmcnt(1)
	v_and_b32_e32 v0, 0xff, v172
	s_waitcnt vmcnt(0)
	v_mul_u32_u24_sdwa v2, v4, v2 dst_sel:DWORD dst_unused:UNUSED_PAD src0_sel:WORD_0 src1_sel:DWORD
	v_mul_lo_u16 v0, 0x4f, v0
	v_lshrrev_b32_e32 v177, 19, v2
	v_mul_lo_u16 v2, v176, 26
	v_lshrrev_b16 v174, 11, v0
	v_mul_lo_u16 v3, v177, 26
	v_sub_nc_u16 v178, v198, v2
	v_mul_lo_u16 v0, v174, 26
	v_sub_nc_u16 v179, v4, v3
	v_lshlrev_b32_e32 v3, 5, v181
	v_sub_nc_u16 v0, v172, v0
	v_lshlrev_b16 v1, 5, v179
	v_and_b32_e32 v180, 0xff, v0
	v_lshlrev_b16 v0, 5, v178
	v_and_b32_e32 v4, 0xffff, v1
	v_lshlrev_b32_e32 v2, 5, v180
	v_and_b32_e32 v0, 0xffff, v0
	s_clause 0x3
	global_load_dwordx4 v[92:95], v2, s[14:15] offset:400
	global_load_dwordx4 v[108:111], v2, s[14:15] offset:384
	;; [unrolled: 1-line block ×4, first 2 shown]
	v_add_co_u32 v0, s1, s14, v0
	v_add_co_ci_u32_e64 v1, null, s15, 0, s1
	v_add_co_u32 v2, s1, s14, v4
	v_add_co_ci_u32_e64 v3, null, s15, 0, s1
	s_clause 0x3
	global_load_dwordx4 v[104:107], v[0:1], off offset:384
	global_load_dwordx4 v[100:103], v[0:1], off offset:400
	;; [unrolled: 1-line block ×4, first 2 shown]
	s_waitcnt vmcnt(7) lgkmcnt(6)
	v_mul_f64 v[4:5], v[162:163], v[94:95]
	s_waitcnt vmcnt(6) lgkmcnt(4)
	v_mul_f64 v[0:1], v[170:171], v[110:111]
	v_mul_f64 v[2:3], v[168:169], v[110:111]
	;; [unrolled: 1-line block ×3, first 2 shown]
	s_waitcnt vmcnt(4) lgkmcnt(2)
	v_mul_f64 v[8:9], v[166:167], v[98:99]
	v_mul_f64 v[10:11], v[164:165], v[98:99]
	;; [unrolled: 1-line block ×4, first 2 shown]
	s_waitcnt vmcnt(3) lgkmcnt(1)
	v_mul_f64 v[16:17], v[150:151], v[106:107]
	s_waitcnt vmcnt(2) lgkmcnt(0)
	v_mul_f64 v[18:19], v[158:159], v[102:103]
	v_mul_f64 v[20:21], v[148:149], v[106:107]
	;; [unrolled: 1-line block ×3, first 2 shown]
	s_waitcnt vmcnt(1)
	v_mul_f64 v[24:25], v[130:131], v[118:119]
	s_waitcnt vmcnt(0)
	v_mul_f64 v[26:27], v[126:127], v[114:115]
	v_mul_f64 v[28:29], v[128:129], v[118:119]
	;; [unrolled: 1-line block ×3, first 2 shown]
	v_fma_f64 v[36:37], v[160:161], v[92:93], -v[4:5]
	v_fma_f64 v[32:33], v[168:169], v[108:109], -v[0:1]
	v_fma_f64 v[34:35], v[170:171], v[108:109], v[2:3]
	v_fma_f64 v[38:39], v[162:163], v[92:93], v[6:7]
	v_fma_f64 v[160:161], v[164:165], v[96:97], -v[8:9]
	v_fma_f64 v[9:10], v[166:167], v[96:97], v[10:11]
	v_fma_f64 v[144:145], v[144:145], v[88:89], -v[12:13]
	v_fma_f64 v[146:147], v[146:147], v[88:89], v[14:15]
	v_lshlrev_b32_e32 v8, 1, v172
	v_fma_f64 v[11:12], v[148:149], v[104:105], -v[16:17]
	v_fma_f64 v[148:149], v[156:157], v[100:101], -v[18:19]
	v_fma_f64 v[13:14], v[150:151], v[104:105], v[20:21]
	v_fma_f64 v[21:22], v[158:159], v[100:101], v[22:23]
	v_fma_f64 v[2:3], v[128:129], v[116:117], -v[24:25]
	v_fma_f64 v[0:1], v[124:125], v[112:113], -v[26:27]
	v_fma_f64 v[6:7], v[130:131], v[116:117], v[28:29]
	v_fma_f64 v[4:5], v[126:127], v[112:113], v[30:31]
	v_add_f64 v[15:16], v[32:33], v[36:37]
	v_add_f64 v[126:127], v[136:137], v[32:33]
	;; [unrolled: 1-line block ×3, first 2 shown]
	v_add_f64 v[128:129], v[34:35], -v[38:39]
	v_add_f64 v[34:35], v[138:139], v[34:35]
	v_add_f64 v[19:20], v[160:161], v[144:145]
	;; [unrolled: 1-line block ×9, first 2 shown]
	v_add_f64 v[31:32], v[32:33], -v[36:37]
	v_add_f64 v[29:30], v[2:3], v[0:1]
	v_add_f64 v[9:10], v[9:10], -v[146:147]
	v_add_f64 v[124:125], v[6:7], v[4:5]
	v_add_f64 v[160:161], v[160:161], -v[144:145]
	v_add_f64 v[162:163], v[13:14], -v[21:22]
	;; [unrolled: 1-line block ×5, first 2 shown]
	v_fma_f64 v[136:137], v[15:16], -0.5, v[136:137]
	v_add_f64 v[11:12], v[126:127], v[36:37]
	v_fma_f64 v[138:139], v[17:18], -0.5, v[138:139]
	v_add_f64 v[13:14], v[34:35], v[38:39]
	v_fma_f64 v[132:133], v[19:20], -0.5, v[132:133]
	v_fma_f64 v[134:135], v[23:24], -0.5, v[134:135]
	v_add_f64 v[15:16], v[130:131], v[144:145]
	v_add_f64 v[17:18], v[150:151], v[146:147]
	;; [unrolled: 1-line block ×3, first 2 shown]
	v_fma_f64 v[140:141], v[25:26], -0.5, v[140:141]
	v_add_f64 v[21:22], v[158:159], v[21:22]
	v_fma_f64 v[142:143], v[27:28], -0.5, v[142:143]
	v_mul_u32_u24_sdwa v39, v174, v182 dst_sel:DWORD dst_unused:UNUSED_PAD src0_sel:WORD_0 src1_sel:DWORD
	v_fma_f64 v[168:169], v[29:30], -0.5, v[120:121]
	v_fma_f64 v[172:173], v[124:125], -0.5, v[122:123]
	v_fma_f64 v[23:24], v[128:129], s[4:5], v[136:137]
	v_fma_f64 v[27:28], v[128:129], s[6:7], v[136:137]
	;; [unrolled: 1-line block ×8, first 2 shown]
	v_mov_b32_e32 v10, 4
	v_fma_f64 v[128:129], v[162:163], s[6:7], v[140:141]
	v_fma_f64 v[124:125], v[162:163], s[4:5], v[140:141]
	;; [unrolled: 1-line block ×8, first 2 shown]
	v_mul_u32_u24_sdwa v132, v175, v182 dst_sel:DWORD dst_unused:UNUSED_PAD src0_sel:WORD_0 src1_sel:DWORD
	v_mad_u16 v133, 0x4e, v176, v178
	v_mad_u16 v134, 0x4e, v177, v179
	v_lshlrev_b32_e32 v9, 1, v255
	v_add_lshl_u32 v132, v132, v181, 4
	buffer_store_dword v134, off, s[52:55], 0 offset:228 ; 4-byte Folded Spill
	v_add_lshl_u32 v134, v39, v180, 4
	v_lshlrev_b32_sdwa v39, v10, v133 dst_sel:DWORD dst_unused:UNUSED_PAD src0_sel:DWORD src1_sel:WORD_0
	s_waitcnt_vscnt null, 0x0
	s_barrier
	buffer_gl0_inv
	ds_write_b128 v134, v[11:14]
	ds_write_b128 v134, v[23:26] offset:416
	buffer_store_dword v134, off, s[52:55], 0 offset:252 ; 4-byte Folded Spill
	ds_write_b128 v134, v[27:30] offset:832
	ds_write_b128 v132, v[15:18]
	ds_write_b128 v132, v[31:34] offset:416
	buffer_store_dword v132, off, s[52:55], 0 offset:244 ; 4-byte Folded Spill
	ds_write_b128 v132, v[35:38] offset:832
	;; [unrolled: 4-line block ×3, first 2 shown]
	s_and_saveexec_b32 s1, vcc_lo
	s_cbranch_execz .LBB0_9
; %bb.8:
	v_add_f64 v[6:7], v[122:123], v[6:7]
	v_add_f64 v[11:12], v[120:121], v[2:3]
	;; [unrolled: 1-line block ×3, first 2 shown]
	buffer_load_dword v4, off, s[52:55], 0 offset:228 ; 4-byte Folded Reload
	v_add_f64 v[0:1], v[11:12], v[0:1]
	s_waitcnt vmcnt(0)
	v_lshlrev_b32_sdwa v4, v10, v4 dst_sel:DWORD dst_unused:UNUSED_PAD src0_sel:DWORD src1_sel:WORD_0
	ds_write_b128 v4, v[188:191] offset:416
	ds_write_b128 v4, v[0:3]
	ds_write_b128 v4, v[192:195] offset:832
.LBB0_9:
	s_or_b32 exec_lo, exec_lo, s1
	buffer_load_dword v216, off, s[52:55], 0 ; 4-byte Folded Reload
	v_lshrrev_b16 v0, 1, v255
	s_waitcnt vmcnt(0) lgkmcnt(0)
	s_waitcnt_vscnt null, 0x0
	s_barrier
	buffer_gl0_inv
	s_mov_b32 s4, 0x134454ff
	v_and_b32_e32 v0, 0x7f, v0
	s_mov_b32 s5, 0x3fee6f0e
	s_mov_b32 s7, 0xbfee6f0e
	;; [unrolled: 1-line block ×3, first 2 shown]
	v_mov_b32_e32 v7, 0x186
	v_mul_lo_u16 v2, 0xd3, v0
	v_lshrrev_b16 v2, 13, v2
	v_mul_lo_u16 v5, 0x4e, v2
	v_mul_u32_u24_sdwa v2, v2, v7 dst_sel:DWORD dst_unused:UNUSED_PAD src0_sel:WORD_0 src1_sel:DWORD
	v_add_co_u32 v1, s1, 0xffffffb2, v216
	v_add_co_ci_u32_e64 v3, null, 0, -1, s1
	v_cmp_gt_u16_e64 s1, 0x4e, v216
	v_cndmask_b32_e64 v0, v1, v216, s1
	v_cndmask_b32_e64 v1, v3, 0, s1
	v_lshlrev_b64 v[3:4], 6, v[0:1]
	v_sub_nc_u16 v1, v255, v5
	v_and_b32_e32 v1, 0xff, v1
	v_add_co_u32 v3, s1, s14, v3
	v_add_co_ci_u32_e64 v4, s1, s15, v4, s1
	v_lshlrev_b32_e32 v5, 6, v1
	s_clause 0x7
	global_load_dwordx4 v[148:151], v[3:4], off offset:1216
	global_load_dwordx4 v[144:147], v[3:4], off offset:1232
	;; [unrolled: 1-line block ×4, first 2 shown]
	global_load_dwordx4 v[132:135], v5, s[14:15] offset:1216
	global_load_dwordx4 v[128:131], v5, s[14:15] offset:1232
	;; [unrolled: 1-line block ×4, first 2 shown]
	ds_read_b128 v[3:6], v236 offset:3744
	ds_read_b128 v[10:13], v236 offset:7488
	;; [unrolled: 1-line block ×8, first 2 shown]
	v_cmp_lt_u16_e64 s1, 0x4d, v216
	s_waitcnt vmcnt(5) lgkmcnt(5)
	v_mul_f64 v[162:163], v[16:17], v[142:143]
	s_waitcnt vmcnt(4) lgkmcnt(4)
	v_mul_f64 v[164:165], v[20:21], v[138:139]
	v_mul_f64 v[166:167], v[14:15], v[142:143]
	;; [unrolled: 1-line block ×7, first 2 shown]
	s_waitcnt vmcnt(3) lgkmcnt(3)
	v_mul_f64 v[170:171], v[24:25], v[134:135]
	v_mul_f64 v[172:173], v[22:23], v[134:135]
	s_waitcnt vmcnt(2) lgkmcnt(2)
	v_mul_f64 v[174:175], v[28:29], v[130:131]
	v_mul_f64 v[176:177], v[26:27], v[130:131]
	s_waitcnt vmcnt(1) lgkmcnt(1)
	v_mul_f64 v[178:179], v[32:33], v[126:127]
	s_waitcnt vmcnt(0) lgkmcnt(0)
	v_mul_f64 v[180:181], v[36:37], v[122:123]
	v_mul_f64 v[182:183], v[30:31], v[126:127]
	;; [unrolled: 1-line block ×3, first 2 shown]
	v_fma_f64 v[14:15], v[14:15], v[140:141], -v[162:163]
	v_fma_f64 v[18:19], v[18:19], v[136:137], -v[164:165]
	v_fma_f64 v[16:17], v[16:17], v[140:141], v[166:167]
	v_fma_f64 v[38:39], v[3:4], v[148:149], -v[38:39]
	v_fma_f64 v[156:157], v[5:6], v[148:149], v[156:157]
	;; [unrolled: 2-line block ×3, first 2 shown]
	v_fma_f64 v[20:21], v[20:21], v[136:137], v[168:169]
	v_fma_f64 v[22:23], v[22:23], v[132:133], -v[170:171]
	v_fma_f64 v[24:25], v[24:25], v[132:133], v[172:173]
	v_fma_f64 v[26:27], v[26:27], v[128:129], -v[174:175]
	;; [unrolled: 2-line block ×3, first 2 shown]
	v_fma_f64 v[34:35], v[34:35], v[120:121], -v[180:181]
	v_fma_f64 v[32:33], v[32:33], v[124:125], v[182:183]
	v_fma_f64 v[36:37], v[36:37], v[120:121], v[184:185]
	ds_read_b128 v[3:6], v236
	ds_read_b128 v[10:13], v236 offset:1872
	s_waitcnt lgkmcnt(0)
	s_barrier
	buffer_gl0_inv
	v_add_f64 v[172:173], v[18:19], -v[14:15]
	v_add_f64 v[176:177], v[14:15], -v[18:19]
	v_add_f64 v[164:165], v[38:39], v[18:19]
	v_add_f64 v[162:163], v[158:159], v[14:15]
	;; [unrolled: 1-line block ×4, first 2 shown]
	v_add_f64 v[170:171], v[38:39], -v[158:159]
	v_add_f64 v[174:175], v[158:159], -v[38:39]
	;; [unrolled: 1-line block ×4, first 2 shown]
	v_add_f64 v[178:179], v[26:27], v[30:31]
	v_add_f64 v[180:181], v[22:23], v[34:35]
	;; [unrolled: 1-line block ×6, first 2 shown]
	v_add_f64 v[200:201], v[160:161], -v[156:157]
	v_add_f64 v[202:203], v[16:17], -v[20:21]
	;; [unrolled: 1-line block ×5, first 2 shown]
	v_add_f64 v[210:211], v[10:11], v[22:23]
	v_add_f64 v[212:213], v[12:13], v[24:25]
	v_add_f64 v[214:215], v[26:27], -v[22:23]
	v_add_f64 v[38:39], v[38:39], -v[18:19]
	v_fma_f64 v[162:163], v[162:163], -0.5, v[3:4]
	v_fma_f64 v[3:4], v[164:165], -0.5, v[3:4]
	v_fma_f64 v[164:165], v[166:167], -0.5, v[5:6]
	v_fma_f64 v[5:6], v[168:169], -0.5, v[5:6]
	v_add_f64 v[168:169], v[24:25], -v[28:29]
	v_add_f64 v[22:23], v[22:23], -v[34:35]
	v_add_f64 v[170:171], v[170:171], v[172:173]
	v_fma_f64 v[178:179], v[178:179], -0.5, v[10:11]
	v_fma_f64 v[10:11], v[180:181], -0.5, v[10:11]
	;; [unrolled: 1-line block ×4, first 2 shown]
	v_add_f64 v[182:183], v[36:37], -v[32:33]
	v_add_f64 v[184:185], v[28:29], -v[24:25]
	v_add_f64 v[204:205], v[204:205], v[158:159]
	v_add_f64 v[158:159], v[158:159], -v[14:15]
	v_add_f64 v[24:25], v[24:25], -v[36:37]
	;; [unrolled: 1-line block ×3, first 2 shown]
	v_add_f64 v[174:175], v[174:175], v[176:177]
	v_add_f64 v[176:177], v[160:161], -v[16:17]
	v_add_f64 v[166:167], v[30:31], -v[34:35]
	v_add_f64 v[160:161], v[186:187], v[160:161]
	v_add_f64 v[186:187], v[28:29], -v[32:33]
	v_add_f64 v[196:197], v[196:197], v[198:199]
	;; [unrolled: 2-line block ×3, first 2 shown]
	v_add_f64 v[202:203], v[206:207], v[208:209]
	v_add_f64 v[26:27], v[210:211], v[26:27]
	v_add_f64 v[28:29], v[212:213], v[28:29]
	v_fma_f64 v[206:207], v[38:39], s[6:7], v[164:165]
	v_fma_f64 v[164:165], v[38:39], s[4:5], v[164:165]
	;; [unrolled: 1-line block ×4, first 2 shown]
	v_add_f64 v[168:169], v[168:169], v[182:183]
	v_fma_f64 v[182:183], v[156:157], s[4:5], v[162:163]
	v_fma_f64 v[162:163], v[156:157], s[6:7], v[162:163]
	v_add_f64 v[14:15], v[204:205], v[14:15]
	v_fma_f64 v[204:205], v[158:159], s[4:5], v[5:6]
	v_fma_f64 v[5:6], v[158:159], s[6:7], v[5:6]
	;; [unrolled: 1-line block ×4, first 2 shown]
	v_add_f64 v[172:173], v[184:185], v[172:173]
	v_fma_f64 v[184:185], v[176:177], s[6:7], v[3:4]
	v_fma_f64 v[3:4], v[176:177], s[4:5], v[3:4]
	v_add_f64 v[166:167], v[214:215], v[166:167]
	v_fma_f64 v[210:211], v[186:187], s[6:7], v[10:11]
	v_fma_f64 v[214:215], v[198:199], s[4:5], v[12:13]
	;; [unrolled: 1-line block ×4, first 2 shown]
	s_mov_b32 s4, 0x4755a5e
	s_mov_b32 s5, 0x3fe2cf23
	;; [unrolled: 1-line block ×4, first 2 shown]
	v_add_f64 v[16:17], v[160:161], v[16:17]
	v_add_f64 v[26:27], v[26:27], v[30:31]
	;; [unrolled: 1-line block ×3, first 2 shown]
	v_fma_f64 v[30:31], v[176:177], s[4:5], v[182:183]
	v_fma_f64 v[32:33], v[176:177], s[6:7], v[162:163]
	;; [unrolled: 1-line block ×16, first 2 shown]
	s_mov_b32 s4, 0x372fe950
	s_mov_b32 s5, 0x3fd3c6ef
	v_add_f64 v[3:4], v[14:15], v[18:19]
	v_add_f64 v[5:6], v[16:17], v[20:21]
	v_add_f64 v[11:12], v[26:27], v[34:35]
	v_add_f64 v[13:14], v[28:29], v[36:37]
	v_fma_f64 v[15:16], v[170:171], s[4:5], v[30:31]
	v_fma_f64 v[19:20], v[170:171], s[4:5], v[32:33]
	;; [unrolled: 1-line block ×16, first 2 shown]
	v_cndmask_b32_e64 v10, 0, 0x186, s1
	v_add_lshl_u32 v255, v0, v10, 4
	v_add_lshl_u32 v0, v2, v1, 4
	ds_write_b128 v255, v[3:6]
	ds_write_b128 v255, v[15:18] offset:1248
	ds_write_b128 v255, v[23:26] offset:2496
	ds_write_b128 v255, v[27:30] offset:3744
	ds_write_b128 v255, v[19:22] offset:4992
	ds_write_b128 v0, v[11:14]
	ds_write_b128 v0, v[31:34] offset:1248
	ds_write_b128 v0, v[35:38] offset:2496
	;; [unrolled: 1-line block ×3, first 2 shown]
	buffer_store_dword v0, off, s[52:55], 0 offset:260 ; 4-byte Folded Spill
	ds_write_b128 v0, v[200:203] offset:4992
	s_waitcnt lgkmcnt(0)
	s_waitcnt_vscnt null, 0x0
	s_barrier
	buffer_gl0_inv
	ds_read_b128 v[204:207], v236
	ds_read_b128 v[196:199], v236 offset:1872
	ds_read_b128 v[216:219], v236 offset:12480
	;; [unrolled: 1-line block ×8, first 2 shown]
	s_and_saveexec_b32 s1, vcc_lo
	s_cbranch_execz .LBB0_11
; %bb.10:
	ds_read_b128 v[200:203], v236 offset:5616
	ds_read_b128 v[188:191], v236 offset:11856
	;; [unrolled: 1-line block ×3, first 2 shown]
.LBB0_11:
	s_or_b32 exec_lo, exec_lo, s1
	v_lshlrev_b32_e32 v0, 4, v8
	v_lshlrev_b32_e32 v4, 4, v9
	s_mov_b32 s4, 0xe8584caa
	s_mov_b32 s5, 0x3febb67a
	;; [unrolled: 1-line block ×3, first 2 shown]
	v_add_co_u32 v2, s1, s14, v0
	v_add_co_ci_u32_e64 v3, null, s15, 0, s1
	s_mov_b32 s6, s4
	v_add_co_u32 v0, s1, 0x1840, v2
	v_add_co_ci_u32_e64 v1, s1, 0, v3, s1
	v_add_co_u32 v2, s1, 0x1800, v2
	v_add_co_ci_u32_e64 v3, s1, 0, v3, s1
	v_add_co_u32 v4, s1, s14, v4
	v_add_co_ci_u32_e64 v5, null, s15, 0, s1
	s_clause 0x1
	global_load_dwordx4 v[164:167], v[2:3], off offset:64
	global_load_dwordx4 v[168:171], v[0:1], off offset:16
	v_add_co_u32 v0, s1, 0x1800, v4
	v_add_co_ci_u32_e64 v1, s1, 0, v5, s1
	v_add_co_u32 v2, s1, 0x1840, v4
	buffer_load_dword v4, off, s[52:55], 0 offset:4 ; 4-byte Folded Reload
	global_load_dwordx4 v[172:175], v[0:1], off offset:64
	buffer_load_dword v0, off, s[52:55], 0  ; 4-byte Folded Reload
	v_add_co_ci_u32_e64 v3, s1, 0, v5, s1
	s_waitcnt vmcnt(4) lgkmcnt(4)
	v_mul_f64 v[11:12], v[224:225], v[166:167]
	s_waitcnt vmcnt(3)
	v_mul_f64 v[15:16], v[216:217], v[170:171]
	v_mul_f64 v[13:14], v[218:219], v[170:171]
	s_waitcnt vmcnt(1) lgkmcnt(2)
	v_mul_f64 v[17:18], v[222:223], v[174:175]
	s_waitcnt vmcnt(0)
	v_add_co_u32 v0, s1, 0xffffffd9, v0
	v_add_co_ci_u32_e64 v1, null, 0, -1, s1
	v_add_co_u32 v6, s1, s14, v4
	buffer_load_dword v4, off, s[52:55], 0 offset:268 ; 4-byte Folded Reload
	v_add_co_ci_u32_e64 v7, null, s15, 0, s1
	v_mul_f64 v[19:20], v[220:221], v[174:175]
	v_fma_f64 v[11:12], v[226:227], v[164:165], v[11:12]
	v_fma_f64 v[218:219], v[218:219], v[168:169], v[15:16]
	v_fma_f64 v[216:217], v[216:217], v[168:169], -v[13:14]
	v_fma_f64 v[13:14], v[220:221], v[172:173], -v[17:18]
	v_fma_f64 v[15:16], v[222:223], v[172:173], v[19:20]
	v_add_f64 v[220:221], v[196:197], v[13:14]
	v_add_f64 v[222:223], v[198:199], v[15:16]
	s_waitcnt vmcnt(0)
	v_cndmask_b32_e32 v1, v1, v4, vcc_lo
	buffer_load_dword v4, off, s[52:55], 0 offset:20 ; 4-byte Folded Reload
	s_waitcnt vmcnt(0)
	v_cndmask_b32_e32 v0, v0, v4, vcc_lo
	v_add_co_u32 v4, s1, 0x1840, v6
	v_add_co_ci_u32_e64 v5, s1, 0, v7, s1
	v_lshlrev_b64 v[0:1], 5, v[0:1]
	v_add_co_u32 v6, s1, 0x1800, v6
	v_add_co_ci_u32_e64 v7, s1, 0, v7, s1
	s_clause 0x1
	global_load_dwordx4 v[176:179], v[6:7], off offset:64
	global_load_dwordx4 v[180:183], v[4:5], off offset:16
	v_add_co_u32 v8, s1, s14, v0
	v_add_co_ci_u32_e64 v9, s1, s15, v1, s1
	v_add_co_u32 v0, s1, 0x1800, v8
	v_add_co_ci_u32_e64 v1, s1, 0, v9, s1
	;; [unrolled: 2-line block ×3, first 2 shown]
	s_clause 0x2
	global_load_dwordx4 v[184:187], v[2:3], off offset:16
	global_load_dwordx4 v[156:159], v[0:1], off offset:64
	;; [unrolled: 1-line block ×3, first 2 shown]
	v_mul_f64 v[8:9], v[226:227], v[166:167]
	v_fma_f64 v[8:9], v[224:225], v[164:165], -v[8:9]
	v_add_f64 v[224:225], v[11:12], -v[218:219]
	s_waitcnt vmcnt(4) lgkmcnt(1)
	v_mul_f64 v[2:3], v[232:233], v[178:179]
	s_waitcnt vmcnt(3) lgkmcnt(0)
	v_mul_f64 v[4:5], v[230:231], v[182:183]
	v_mul_f64 v[6:7], v[228:229], v[182:183]
	;; [unrolled: 1-line block ×3, first 2 shown]
	s_waitcnt vmcnt(2)
	v_mul_f64 v[21:22], v[214:215], v[186:187]
	s_waitcnt vmcnt(1)
	v_mul_f64 v[25:26], v[190:191], v[158:159]
	v_mul_f64 v[29:30], v[188:189], v[158:159]
	;; [unrolled: 1-line block ×3, first 2 shown]
	s_waitcnt vmcnt(0)
	v_mul_f64 v[27:28], v[194:195], v[162:163]
	v_mul_f64 v[31:32], v[192:193], v[162:163]
	v_fma_f64 v[35:36], v[234:235], v[176:177], v[2:3]
	v_fma_f64 v[37:38], v[228:229], v[180:181], -v[4:5]
	v_fma_f64 v[228:229], v[230:231], v[180:181], v[6:7]
	v_fma_f64 v[33:34], v[232:233], v[176:177], -v[0:1]
	v_fma_f64 v[19:20], v[212:213], v[184:185], -v[21:22]
	;; [unrolled: 1-line block ×3, first 2 shown]
	buffer_store_dword v156, off, s[52:55], 0 offset:20 ; 4-byte Folded Spill
	buffer_store_dword v157, off, s[52:55], 0 offset:24 ; 4-byte Folded Spill
	;; [unrolled: 1-line block ×4, first 2 shown]
	v_fma_f64 v[21:22], v[214:215], v[184:185], v[23:24]
	v_fma_f64 v[0:1], v[192:193], v[160:161], -v[27:28]
	v_add_f64 v[27:28], v[11:12], v[218:219]
	v_fma_f64 v[4:5], v[194:195], v[160:161], v[31:32]
	v_add_f64 v[25:26], v[8:9], v[216:217]
	v_add_f64 v[212:213], v[204:205], v[8:9]
	;; [unrolled: 1-line block ×6, first 2 shown]
	v_add_f64 v[194:195], v[35:36], -v[228:229]
	v_add_f64 v[35:36], v[210:211], v[35:36]
	v_add_f64 v[33:34], v[33:34], -v[37:38]
	v_add_f64 v[8:9], v[8:9], -v[216:217]
	;; [unrolled: 1-line block ×3, first 2 shown]
	v_add_f64 v[31:32], v[15:16], v[21:22]
	v_add_f64 v[188:189], v[2:3], v[0:1]
	v_fma_f64 v[206:207], v[27:28], -0.5, v[206:207]
	v_add_f64 v[226:227], v[15:16], -v[21:22]
	v_fma_f64 v[204:205], v[25:26], -0.5, v[204:205]
	v_add_f64 v[237:238], v[2:3], -v[0:1]
	v_add_f64 v[15:16], v[212:213], v[216:217]
	v_fma_f64 v[210:211], v[23:24], -0.5, v[210:211]
	v_fma_f64 v[208:209], v[17:18], -0.5, v[208:209]
	v_add_f64 v[11:12], v[192:193], v[37:38]
	v_add_f64 v[17:18], v[214:215], v[218:219]
	;; [unrolled: 1-line block ×3, first 2 shown]
	v_fma_f64 v[198:199], v[31:32], -0.5, v[198:199]
	v_fma_f64 v[234:235], v[188:189], -0.5, v[200:201]
	v_fma_f64 v[37:38], v[8:9], s[4:5], v[206:207]
	v_fma_f64 v[31:32], v[224:225], s[4:5], v[204:205]
	;; [unrolled: 1-line block ×6, first 2 shown]
	v_add_f64 v[29:30], v[13:14], v[19:20]
	v_add_f64 v[13:14], v[35:36], v[228:229]
	v_fma_f64 v[35:36], v[224:225], s[6:7], v[204:205]
	v_add_f64 v[19:20], v[220:221], v[19:20]
	v_add_f64 v[190:191], v[6:7], v[4:5]
	v_fma_f64 v[196:197], v[29:30], -0.5, v[196:197]
	v_fma_f64 v[29:30], v[33:34], s[4:5], v[210:211]
	v_fma_f64 v[33:34], v[8:9], s[6:7], v[206:207]
	buffer_load_dword v8, off, s[52:55], 0 offset:12 ; 4-byte Folded Reload
	v_add_f64 v[232:233], v[6:7], -v[4:5]
	v_fma_f64 v[206:207], v[230:231], s[4:5], v[198:199]
	v_fma_f64 v[239:240], v[190:191], -0.5, v[202:203]
	v_fma_f64 v[188:189], v[226:227], s[4:5], v[196:197]
	v_fma_f64 v[204:205], v[226:227], s[6:7], v[196:197]
	;; [unrolled: 1-line block ×3, first 2 shown]
	ds_write_b128 v236, v[15:18]
	ds_write_b128 v236, v[31:34] offset:6240
	ds_write_b128 v236, v[35:38] offset:12480
	;; [unrolled: 1-line block ×8, first 2 shown]
	v_fma_f64 v[192:193], v[232:233], s[4:5], v[234:235]
	v_fma_f64 v[196:197], v[232:233], s[6:7], v[234:235]
	;; [unrolled: 1-line block ×4, first 2 shown]
	s_waitcnt vmcnt(0)
	v_add_nc_u32_e32 v8, 0x3a80, v8
	s_and_saveexec_b32 s1, vcc_lo
	s_cbranch_execz .LBB0_13
; %bb.12:
	v_add_f64 v[6:7], v[202:203], v[6:7]
	v_add_f64 v[11:12], v[200:201], v[2:3]
	;; [unrolled: 1-line block ×4, first 2 shown]
	ds_write_b128 v236, v[192:195] offset:11856
	ds_write_b128 v236, v[0:3] offset:5616
	;; [unrolled: 1-line block ×3, first 2 shown]
.LBB0_13:
	s_or_b32 exec_lo, exec_lo, s1
	buffer_load_dword v0, off, s[52:55], 0  ; 4-byte Folded Reload
	s_waitcnt vmcnt(0) lgkmcnt(0)
	s_waitcnt_vscnt null, 0x0
	s_barrier
	buffer_gl0_inv
	v_lshlrev_b32_e32 v0, 4, v0
	v_add_co_u32 v9, s1, s12, v0
	v_add_co_ci_u32_e64 v10, null, s13, 0, s1
	v_add_co_u32 v4, s1, 0x4920, v9
	v_add_co_ci_u32_e64 v5, s1, 0, v10, s1
	v_add_co_u32 v0, s1, 0x4800, v9
	v_add_co_ci_u32_e64 v1, s1, 0, v10, s1
	;; [unrolled: 2-line block ×8, first 2 shown]
	global_load_dwordx4 v[0:3], v[0:1], off offset:288
	v_add_co_u32 v35, s1, 0x6000, v9
	v_add_co_ci_u32_e64 v36, s1, 0, v10, s1
	v_add_co_u32 v188, s1, 0x8800, v9
	s_clause 0x4
	global_load_dwordx4 v[4:7], v[4:5], off offset:1872
	global_load_dwordx4 v[11:14], v[11:12], off offset:1456
	;; [unrolled: 1-line block ×5, first 2 shown]
	v_add_co_ci_u32_e64 v189, s1, 0, v10, s1
	s_clause 0x3
	global_load_dwordx4 v[27:30], v[27:28], off offset:1808
	global_load_dwordx4 v[31:34], v[31:32], off offset:928
	;; [unrolled: 1-line block ×4, first 2 shown]
	ds_read_b128 v[200:203], v236
	ds_read_b128 v[204:207], v236 offset:9360
	ds_read_b128 v[208:211], v236 offset:1872
	;; [unrolled: 1-line block ×9, first 2 shown]
	s_waitcnt vmcnt(9) lgkmcnt(9)
	v_mul_f64 v[241:242], v[202:203], v[2:3]
	v_mul_f64 v[2:3], v[200:201], v[2:3]
	s_waitcnt vmcnt(8) lgkmcnt(7)
	v_mul_f64 v[245:246], v[210:211], v[6:7]
	s_waitcnt vmcnt(7)
	v_mul_f64 v[243:244], v[206:207], v[13:14]
	v_mul_f64 v[13:14], v[204:205], v[13:14]
	;; [unrolled: 1-line block ×3, first 2 shown]
	s_waitcnt vmcnt(6) lgkmcnt(6)
	v_mul_f64 v[247:248], v[214:215], v[17:18]
	v_mul_f64 v[17:18], v[212:213], v[17:18]
	s_waitcnt vmcnt(5) lgkmcnt(5)
	v_mul_f64 v[249:250], v[218:219], v[21:22]
	v_mul_f64 v[21:22], v[216:217], v[21:22]
	;; [unrolled: 3-line block ×5, first 2 shown]
	s_waitcnt vmcnt(1)
	v_mul_f64 v[156:157], v[230:231], v[37:38]
	v_mul_f64 v[37:38], v[228:229], v[37:38]
	s_waitcnt vmcnt(0) lgkmcnt(0)
	v_mul_f64 v[158:159], v[239:240], v[190:191]
	v_mul_f64 v[190:191], v[237:238], v[190:191]
	v_fma_f64 v[200:201], v[200:201], v[0:1], -v[241:242]
	v_fma_f64 v[202:203], v[202:203], v[0:1], v[2:3]
	v_fma_f64 v[0:1], v[204:205], v[11:12], -v[243:244]
	v_fma_f64 v[2:3], v[206:207], v[11:12], v[13:14]
	;; [unrolled: 2-line block ×10, first 2 shown]
	ds_write_b128 v236, v[200:203]
	ds_write_b128 v236, v[0:3] offset:9360
	ds_write_b128 v236, v[11:14] offset:1872
	;; [unrolled: 1-line block ×9, first 2 shown]
	s_waitcnt lgkmcnt(0)
	s_barrier
	buffer_gl0_inv
	ds_read_b128 v[0:3], v236 offset:9360
	ds_read_b128 v[4:7], v236
	ds_read_b128 v[11:14], v236 offset:1872
	ds_read_b128 v[15:18], v236 offset:11232
	;; [unrolled: 1-line block ×8, first 2 shown]
	s_waitcnt lgkmcnt(0)
	s_barrier
	buffer_gl0_inv
	v_add_f64 v[232:233], v[4:5], -v[0:1]
	buffer_load_dword v0, off, s[52:55], 0 offset:12 ; 4-byte Folded Reload
	v_add_f64 v[234:235], v[6:7], -v[2:3]
	v_add_f64 v[216:217], v[11:12], -v[15:16]
	;; [unrolled: 1-line block ×9, first 2 shown]
	v_fma_f64 v[188:189], v[4:5], 2.0, -v[232:233]
	v_fma_f64 v[190:191], v[6:7], 2.0, -v[234:235]
	;; [unrolled: 1-line block ×10, first 2 shown]
	s_waitcnt vmcnt(0)
	ds_write_b128 v0, v[232:235] offset:16
	ds_write_b128 v0, v[188:191]
	buffer_load_dword v0, off, s[52:55], 0 offset:220 ; 4-byte Folded Reload
	s_waitcnt vmcnt(0)
	ds_write_b128 v0, v[224:227]
	ds_write_b128 v0, v[216:219] offset:16
	buffer_load_dword v0, off, s[52:55], 0 offset:4 ; 4-byte Folded Reload
	s_waitcnt vmcnt(0)
	ds_write_b128 v0, v[220:223]
	ds_write_b128 v0, v[208:211] offset:16
	;; [unrolled: 4-line block ×3, first 2 shown]
	ds_write_b128 v8, v[212:215]
	ds_write_b128 v8, v[228:231] offset:16
	s_waitcnt lgkmcnt(0)
	s_barrier
	buffer_gl0_inv
	s_and_saveexec_b32 s1, s0
	s_cbranch_execz .LBB0_15
; %bb.14:
	ds_read_b128 v[188:191], v236
	ds_read_b128 v[232:235], v236 offset:1440
	ds_read_b128 v[224:227], v236 offset:2880
	ds_read_b128 v[216:219], v236 offset:4320
	ds_read_b128 v[220:223], v236 offset:5760
	ds_read_b128 v[208:211], v236 offset:7200
	ds_read_b128 v[204:207], v236 offset:8640
	ds_read_b128 v[200:203], v236 offset:10080
	ds_read_b128 v[212:215], v236 offset:11520
	ds_read_b128 v[228:231], v236 offset:12960
	ds_read_b128 v[192:195], v236 offset:14400
	ds_read_b128 v[196:199], v236 offset:15840
	ds_read_b128 v[152:155], v236 offset:17280
.LBB0_15:
	s_or_b32 exec_lo, exec_lo, s1
	s_waitcnt lgkmcnt(11)
	v_mul_f64 v[0:1], v[46:47], v[232:233]
	s_waitcnt lgkmcnt(0)
	v_mul_f64 v[2:3], v[74:75], v[152:153]
	v_mul_f64 v[4:5], v[46:47], v[234:235]
	;; [unrolled: 1-line block ×7, first 2 shown]
	s_mov_b32 s4, 0x42a4c3d2
	s_mov_b32 s5, 0xbfea55e2
	;; [unrolled: 1-line block ×12, first 2 shown]
	v_mul_f64 v[20:21], v[42:43], v[200:201]
	s_mov_b32 s22, 0x24c2f84
	v_fma_f64 v[36:37], v[44:45], v[234:235], -v[0:1]
	v_fma_f64 v[28:29], v[72:73], v[154:155], -v[2:3]
	v_mul_f64 v[0:1], v[58:59], v[216:217]
	v_mul_f64 v[2:3], v[82:83], v[192:193]
	v_fma_f64 v[232:233], v[44:45], v[232:233], v[4:5]
	v_fma_f64 v[234:235], v[68:69], v[226:227], -v[6:7]
	v_fma_f64 v[32:33], v[76:77], v[198:199], -v[8:9]
	v_fma_f64 v[30:31], v[72:73], v[152:153], v[10:11]
	v_mul_f64 v[4:5], v[58:59], v[218:219]
	v_mul_f64 v[6:7], v[54:55], v[220:221]
	;; [unrolled: 1-line block ×3, first 2 shown]
	v_fma_f64 v[58:59], v[76:77], v[196:197], v[14:15]
	v_mul_f64 v[10:11], v[66:67], v[208:209]
	v_mul_f64 v[14:15], v[86:87], v[230:231]
	s_mov_b32 s20, 0xd0032e0c
	s_mov_b32 s23, 0x3fe5384d
	;; [unrolled: 1-line block ×3, first 2 shown]
	v_mul_f64 v[22:23], v[42:43], v[202:203]
	s_mov_b32 s28, 0x66966769
	s_mov_b32 s26, 0xebaa3ed8
	;; [unrolled: 1-line block ×5, first 2 shown]
	v_add_f64 v[152:153], v[36:37], -v[28:29]
	v_fma_f64 v[198:199], v[56:57], v[218:219], -v[0:1]
	v_fma_f64 v[72:73], v[80:81], v[194:195], -v[2:3]
	v_fma_f64 v[218:219], v[68:69], v[224:225], v[12:13]
	v_add_f64 v[237:238], v[36:37], v[28:29]
	v_add_f64 v[76:77], v[234:235], -v[32:33]
	v_add_f64 v[241:242], v[232:233], v[30:31]
	v_mul_f64 v[0:1], v[86:87], v[228:229]
	v_mul_f64 v[2:3], v[54:55], v[222:223]
	;; [unrolled: 1-line block ×3, first 2 shown]
	v_fma_f64 v[216:217], v[56:57], v[216:217], v[4:5]
	v_fma_f64 v[54:55], v[80:81], v[192:193], v[8:9]
	v_fma_f64 v[194:195], v[52:53], v[222:223], -v[6:7]
	v_add_f64 v[80:81], v[234:235], v[32:33]
	v_add_f64 v[4:5], v[232:233], -v[30:31]
	v_mul_f64 v[8:9], v[62:63], v[214:215]
	v_fma_f64 v[226:227], v[64:65], v[210:211], -v[10:11]
	s_mov_b32 s27, 0x3fbedb7d
	s_mov_b32 s43, 0x3fddbe06
	;; [unrolled: 1-line block ×5, first 2 shown]
	v_mul_f64 v[224:225], v[152:153], s[4:5]
	v_mul_f64 v[247:248], v[152:153], s[28:29]
	v_add_f64 v[68:69], v[198:199], -v[72:73]
	v_add_f64 v[82:83], v[218:219], v[58:59]
	v_mul_f64 v[16:17], v[237:238], s[16:17]
	v_mul_f64 v[156:157], v[76:77], s[12:13]
	;; [unrolled: 1-line block ×3, first 2 shown]
	v_fma_f64 v[56:57], v[84:85], v[230:231], -v[0:1]
	v_mul_f64 v[0:1], v[66:67], v[210:211]
	v_fma_f64 v[192:193], v[52:53], v[220:221], v[2:3]
	v_fma_f64 v[52:53], v[84:85], v[228:229], v[14:15]
	v_fma_f64 v[74:75], v[60:61], v[214:215], -v[12:13]
	v_add_f64 v[84:85], v[198:199], v[72:73]
	v_add_f64 v[214:215], v[218:219], -v[58:59]
	v_add_f64 v[66:67], v[216:217], v[54:55]
	v_mul_f64 v[158:159], v[80:81], s[6:7]
	v_mul_f64 v[12:13], v[50:51], v[206:207]
	;; [unrolled: 1-line block ×3, first 2 shown]
	v_add_f64 v[228:229], v[216:217], -v[54:55]
	v_fma_f64 v[212:213], v[60:61], v[212:213], v[8:9]
	s_mov_b32 s38, s12
	s_mov_b32 s35, 0xbfe5384d
	v_fma_f64 v[6:7], v[241:242], s[16:17], -v[224:225]
	s_mov_b32 s34, s22
	v_mul_f64 v[34:35], v[68:69], s[14:15]
	v_mul_f64 v[78:79], v[80:81], s[20:21]
	v_fma_f64 v[2:3], v[4:5], s[4:5], v[16:17]
	v_fma_f64 v[10:11], v[82:83], s[6:7], -v[156:157]
	s_mov_b32 s41, 0x3fcea1e5
	v_add_f64 v[62:63], v[194:195], -v[56:57]
	v_fma_f64 v[38:39], v[64:65], v[208:209], v[0:1]
	v_add_f64 v[210:211], v[194:195], v[56:57]
	v_add_f64 v[208:209], v[192:193], v[52:53]
	v_add_f64 v[60:61], v[226:227], -v[74:75]
	v_mul_f64 v[196:197], v[84:85], s[18:19]
	v_mul_f64 v[154:155], v[84:85], s[30:31]
	s_mov_b32 s40, s14
	v_fma_f64 v[0:1], v[214:215], s[12:13], v[158:159]
	s_mov_b32 s37, 0x3fea55e2
	v_fma_f64 v[8:9], v[48:49], v[206:207], -v[14:15]
	v_add_f64 v[206:207], v[192:193], -v[52:53]
	s_mov_b32 s36, s4
	v_add_f64 v[6:7], v[188:189], v[6:7]
	v_fma_f64 v[18:19], v[66:67], s[18:19], -v[34:35]
	v_fma_f64 v[26:27], v[214:215], s[22:23], v[78:79]
	v_add_f64 v[2:3], v[190:191], v[2:3]
	v_mul_f64 v[86:87], v[62:63], s[22:23]
	v_add_f64 v[64:65], v[38:39], v[212:213]
	v_mul_f64 v[222:223], v[210:211], s[20:21]
	v_add_f64 v[245:246], v[38:39], -v[212:213]
	v_mul_f64 v[220:221], v[60:61], s[24:25]
	v_mul_f64 v[239:240], v[60:61], s[4:5]
	v_add_f64 v[10:11], v[10:11], v[6:7]
	v_fma_f64 v[6:7], v[48:49], v[204:205], v[12:13]
	v_add_f64 v[204:205], v[226:227], v[74:75]
	v_add_f64 v[0:1], v[0:1], v[2:3]
	v_fma_f64 v[2:3], v[228:229], s[14:15], v[196:197]
	v_fma_f64 v[12:13], v[208:209], s[20:21], -v[86:87]
	v_fma_f64 v[14:15], v[206:207], s[22:23], v[222:223]
	v_add_f64 v[10:11], v[18:19], v[10:11]
	v_fma_f64 v[18:19], v[40:41], v[202:203], -v[20:21]
	v_fma_f64 v[20:21], v[40:41], v[200:201], v[22:23]
	v_mul_f64 v[22:23], v[204:205], s[26:27]
	v_mul_f64 v[243:244], v[204:205], s[16:17]
	v_add_f64 v[0:1], v[2:3], v[0:1]
	v_fma_f64 v[2:3], v[64:65], s[26:27], -v[220:221]
	v_add_f64 v[10:11], v[12:13], v[10:11]
	v_add_f64 v[249:250], v[8:9], -v[18:19]
	v_add_f64 v[200:201], v[6:7], v[20:21]
	v_fma_f64 v[12:13], v[245:246], s[24:25], v[22:23]
	v_add_f64 v[202:203], v[8:9], v[18:19]
	v_add_f64 v[0:1], v[14:15], v[0:1]
	v_add_f64 v[253:254], v[6:7], -v[20:21]
	v_add_f64 v[2:3], v[2:3], v[10:11]
	v_mul_f64 v[14:15], v[249:250], s[42:43]
	v_mul_f64 v[70:71], v[249:250], s[34:35]
	;; [unrolled: 1-line block ×3, first 2 shown]
	v_add_f64 v[0:1], v[12:13], v[0:1]
	v_mul_f64 v[12:13], v[202:203], s[30:31]
	v_fma_f64 v[10:11], v[200:201], s[30:31], -v[14:15]
	v_add_f64 v[44:45], v[10:11], v[2:3]
	v_fma_f64 v[2:3], v[253:254], s[42:43], v[12:13]
	v_mul_f64 v[10:11], v[80:81], s[18:19]
	v_add_f64 v[46:47], v[2:3], v[0:1]
	v_mul_f64 v[2:3], v[76:77], s[14:15]
	v_fma_f64 v[0:1], v[241:242], s[26:27], -v[247:248]
	buffer_store_dword v2, off, s[52:55], 0 offset:268 ; 4-byte Folded Spill
	buffer_store_dword v3, off, s[52:55], 0 offset:272 ; 4-byte Folded Spill
	;; [unrolled: 1-line block ×4, first 2 shown]
	v_add_f64 v[0:1], v[188:189], v[0:1]
	v_fma_f64 v[2:3], v[82:83], s[18:19], -v[2:3]
	v_fma_f64 v[10:11], v[214:215], s[14:15], v[10:11]
	v_add_f64 v[0:1], v[2:3], v[0:1]
	v_fma_f64 v[2:3], v[4:5], s[28:29], v[251:252]
	v_add_f64 v[2:3], v[190:191], v[2:3]
	v_add_f64 v[2:3], v[10:11], v[2:3]
	v_mul_f64 v[10:11], v[68:69], s[38:39]
	buffer_store_dword v10, off, s[52:55], 0 offset:212 ; 4-byte Folded Spill
	buffer_store_dword v11, off, s[52:55], 0 offset:216 ; 4-byte Folded Spill
	v_fma_f64 v[10:11], v[66:67], s[6:7], -v[10:11]
	v_add_f64 v[0:1], v[10:11], v[0:1]
	v_mul_f64 v[10:11], v[84:85], s[6:7]
	buffer_store_dword v10, off, s[52:55], 0 offset:276 ; 4-byte Folded Spill
	buffer_store_dword v11, off, s[52:55], 0 offset:280 ; 4-byte Folded Spill
	v_fma_f64 v[10:11], v[228:229], s[38:39], v[10:11]
	v_add_f64 v[2:3], v[10:11], v[2:3]
	v_mul_f64 v[10:11], v[62:63], s[42:43]
	buffer_store_dword v10, off, s[52:55], 0 offset:4 ; 4-byte Folded Spill
	buffer_store_dword v11, off, s[52:55], 0 offset:8 ; 4-byte Folded Spill
	v_fma_f64 v[10:11], v[208:209], s[30:31], -v[10:11]
	v_add_f64 v[0:1], v[10:11], v[0:1]
	v_mul_f64 v[10:11], v[210:211], s[30:31]
	buffer_store_dword v10, off, s[52:55], 0 offset:12 ; 4-byte Folded Spill
	buffer_store_dword v11, off, s[52:55], 0 offset:16 ; 4-byte Folded Spill
	v_fma_f64 v[10:11], v[206:207], s[42:43], v[10:11]
	v_add_f64 v[2:3], v[10:11], v[2:3]
	v_fma_f64 v[10:11], v[64:65], s[16:17], -v[239:240]
	v_add_f64 v[0:1], v[10:11], v[0:1]
	v_fma_f64 v[10:11], v[245:246], s[4:5], v[243:244]
	v_add_f64 v[2:3], v[10:11], v[2:3]
	v_fma_f64 v[10:11], v[200:201], s[20:21], -v[70:71]
	v_add_f64 v[48:49], v[10:11], v[0:1]
	v_mul_f64 v[10:11], v[76:77], s[22:23]
	v_fma_f64 v[0:1], v[253:254], s[34:35], v[230:231]
	buffer_store_dword v10, off, s[52:55], 0 offset:308 ; 4-byte Folded Spill
	buffer_store_dword v11, off, s[52:55], 0 offset:312 ; 4-byte Folded Spill
	v_add_f64 v[50:51], v[0:1], v[2:3]
	v_mul_f64 v[0:1], v[152:153], s[12:13]
	v_fma_f64 v[2:3], v[241:242], s[6:7], -v[0:1]
	v_add_f64 v[2:3], v[188:189], v[2:3]
	v_fma_f64 v[10:11], v[82:83], s[20:21], -v[10:11]
	v_add_f64 v[10:11], v[10:11], v[2:3]
	v_mul_f64 v[2:3], v[237:238], s[6:7]
	v_fma_f64 v[24:25], v[4:5], s[12:13], v[2:3]
	v_add_f64 v[24:25], v[190:191], v[24:25]
	v_add_f64 v[24:25], v[26:27], v[24:25]
	v_mul_f64 v[26:27], v[68:69], s[42:43]
	buffer_store_dword v26, off, s[52:55], 0 offset:300 ; 4-byte Folded Spill
	buffer_store_dword v27, off, s[52:55], 0 offset:304 ; 4-byte Folded Spill
	v_fma_f64 v[26:27], v[66:67], s[30:31], -v[26:27]
	v_add_f64 v[10:11], v[26:27], v[10:11]
	v_fma_f64 v[26:27], v[228:229], s[42:43], v[154:155]
	v_add_f64 v[24:25], v[26:27], v[24:25]
	v_mul_f64 v[26:27], v[62:63], s[28:29]
	buffer_store_dword v26, off, s[52:55], 0 offset:292 ; 4-byte Folded Spill
	buffer_store_dword v27, off, s[52:55], 0 offset:296 ; 4-byte Folded Spill
	v_fma_f64 v[26:27], v[208:209], s[26:27], -v[26:27]
	v_add_f64 v[10:11], v[26:27], v[10:11]
	v_mul_f64 v[26:27], v[210:211], s[26:27]
	buffer_store_dword v26, off, s[52:55], 0 offset:316 ; 4-byte Folded Spill
	buffer_store_dword v27, off, s[52:55], 0 offset:320 ; 4-byte Folded Spill
	v_fma_f64 v[26:27], v[206:207], s[28:29], v[26:27]
	v_add_f64 v[24:25], v[26:27], v[24:25]
	v_mul_f64 v[26:27], v[60:61], s[40:41]
	buffer_store_dword v26, off, s[52:55], 0 offset:220 ; 4-byte Folded Spill
	buffer_store_dword v27, off, s[52:55], 0 offset:224 ; 4-byte Folded Spill
	v_fma_f64 v[26:27], v[64:65], s[18:19], -v[26:27]
	v_add_f64 v[10:11], v[26:27], v[10:11]
	v_mul_f64 v[26:27], v[204:205], s[18:19]
	buffer_store_dword v26, off, s[52:55], 0 offset:324 ; 4-byte Folded Spill
	buffer_store_dword v27, off, s[52:55], 0 offset:328 ; 4-byte Folded Spill
	s_waitcnt_vscnt null, 0x0
	s_barrier
	buffer_gl0_inv
	v_fma_f64 v[26:27], v[245:246], s[40:41], v[26:27]
	v_add_f64 v[42:43], v[26:27], v[24:25]
	v_mul_f64 v[24:25], v[249:250], s[36:37]
	v_fma_f64 v[26:27], v[200:201], s[16:17], -v[24:25]
	v_add_f64 v[40:41], v[26:27], v[10:11]
	v_mul_f64 v[26:27], v[202:203], s[16:17]
	v_fma_f64 v[10:11], v[253:254], s[36:37], v[26:27]
	v_add_f64 v[42:43], v[10:11], v[42:43]
	s_and_saveexec_b32 s1, s0
	s_cbranch_execz .LBB0_17
; %bb.16:
	buffer_store_dword v243, off, s[52:55], 0 offset:436 ; 4-byte Folded Spill
	buffer_store_dword v244, off, s[52:55], 0 offset:440 ; 4-byte Folded Spill
	v_mov_b32_e32 v244, v75
	v_mov_b32_e32 v243, v74
	;; [unrolled: 1-line block ×6, first 2 shown]
	v_mul_f64 v[156:157], v[241:242], s[6:7]
	buffer_store_dword v220, off, s[52:55], 0 offset:428 ; 4-byte Folded Spill
	buffer_store_dword v221, off, s[52:55], 0 offset:432 ; 4-byte Folded Spill
	v_mov_b32_e32 v221, v87
	v_mov_b32_e32 v220, v86
	;; [unrolled: 1-line block ×4, first 2 shown]
	v_mul_f64 v[158:159], v[241:242], s[16:17]
	v_mul_f64 v[10:11], v[4:5], s[12:13]
	buffer_store_dword v58, off, s[52:55], 0 offset:340 ; 4-byte Folded Spill
	buffer_store_dword v59, off, s[52:55], 0 offset:344 ; 4-byte Folded Spill
	;; [unrolled: 1-line block ×6, first 2 shown]
	v_mul_f64 v[58:59], v[228:229], s[42:43]
	v_mul_f64 v[12:13], v[245:246], s[42:43]
	;; [unrolled: 1-line block ×3, first 2 shown]
	v_add_f64 v[232:233], v[188:189], v[232:233]
	v_add_f64 v[0:1], v[156:157], v[0:1]
	v_mul_f64 v[156:157], v[4:5], s[4:5]
	v_add_f64 v[158:159], v[158:159], v[224:225]
	v_mul_f64 v[224:225], v[253:254], s[42:43]
	v_add_f64 v[2:3], v[2:3], -v[10:11]
	v_mul_f64 v[10:11], v[4:5], s[28:29]
	buffer_store_dword v224, off, s[52:55], 0 offset:372 ; 4-byte Folded Spill
	buffer_store_dword v225, off, s[52:55], 0 offset:376 ; 4-byte Folded Spill
	;; [unrolled: 1-line block ×4, first 2 shown]
	v_add_f64 v[16:17], v[16:17], -v[156:157]
	v_mul_f64 v[156:157], v[241:242], s[26:27]
	v_add_f64 v[10:11], v[251:252], -v[10:11]
	v_mul_f64 v[251:252], v[76:77], s[42:43]
	v_mul_f64 v[54:55], v[60:61], s[42:43]
	v_mov_b32_e32 v225, v23
	buffer_store_dword v24, off, s[52:55], 0 offset:388 ; 4-byte Folded Spill
	buffer_store_dword v25, off, s[52:55], 0 offset:392 ; 4-byte Folded Spill
	v_mov_b32_e32 v224, v22
	v_mul_f64 v[22:23], v[4:5], s[14:15]
	v_mul_f64 v[24:25], v[4:5], s[34:35]
	buffer_store_dword v26, off, s[52:55], 0 offset:396 ; 4-byte Folded Spill
	buffer_store_dword v27, off, s[52:55], 0 offset:400 ; 4-byte Folded Spill
	;; [unrolled: 1-line block ×8, first 2 shown]
	v_mul_f64 v[30:31], v[152:153], s[34:35]
	buffer_store_dword v32, off, s[52:55], 0 offset:380 ; 4-byte Folded Spill
	buffer_store_dword v33, off, s[52:55], 0 offset:384 ; 4-byte Folded Spill
	;; [unrolled: 1-line block ×6, first 2 shown]
	v_mov_b32_e32 v70, v192
	v_mov_b32_e32 v71, v193
	;; [unrolled: 1-line block ×5, first 2 shown]
	v_add_f64 v[156:157], v[156:157], v[247:248]
	v_mul_f64 v[247:248], v[214:215], s[42:43]
	s_mov_b32 s43, 0xbfddbe06
	v_mov_b32_e32 v217, v199
	v_mul_f64 v[4:5], v[4:5], s[42:43]
	v_mov_b32_e32 v230, v52
	v_mov_b32_e32 v52, v56
	v_fma_f64 v[26:27], v[237:238], s[18:19], v[22:23]
	v_fma_f64 v[22:23], v[237:238], s[18:19], -v[22:23]
	v_fma_f64 v[72:73], v[237:238], s[20:21], v[24:25]
	v_fma_f64 v[24:25], v[237:238], s[20:21], -v[24:25]
	v_mov_b32_e32 v216, v198
	v_mov_b32_e32 v198, v234
	;; [unrolled: 1-line block ×3, first 2 shown]
	v_fma_f64 v[56:57], v[241:242], s[20:21], -v[30:31]
	v_fma_f64 v[30:31], v[241:242], s[20:21], v[30:31]
	v_mov_b32_e32 v199, v235
	v_add_f64 v[158:159], v[188:189], v[158:159]
	v_add_f64 v[0:1], v[188:189], v[0:1]
	;; [unrolled: 1-line block ×6, first 2 shown]
	v_add_f64 v[58:59], v[154:155], -v[58:59]
	v_fma_f64 v[28:29], v[237:238], s[30:31], -v[4:5]
	v_fma_f64 v[4:5], v[237:238], s[30:31], v[4:5]
	v_mul_f64 v[237:238], v[152:153], s[14:15]
	v_mul_f64 v[152:153], v[152:153], s[42:43]
	v_add_f64 v[26:27], v[190:191], v[26:27]
	v_add_f64 v[22:23], v[190:191], v[22:23]
	;; [unrolled: 1-line block ×8, first 2 shown]
	v_fma_f64 v[32:33], v[241:242], s[18:19], -v[237:238]
	v_fma_f64 v[237:238], v[241:242], s[18:19], v[237:238]
	v_fma_f64 v[234:235], v[241:242], s[30:31], v[152:153]
	v_fma_f64 v[152:153], v[241:242], s[30:31], -v[152:153]
	v_add_f64 v[241:242], v[190:191], v[36:37]
	v_mul_f64 v[190:191], v[214:215], s[24:25]
	s_clause 0x1
	buffer_load_dword v36, off, s[52:55], 0 offset:324
	buffer_load_dword v37, off, s[52:55], 0 offset:328
	v_add_f64 v[32:33], v[188:189], v[32:33]
	v_add_f64 v[237:238], v[188:189], v[237:238]
	;; [unrolled: 1-line block ×4, first 2 shown]
	v_mul_f64 v[188:189], v[214:215], s[22:23]
	v_add_f64 v[154:155], v[241:242], v[198:199]
	v_mul_f64 v[198:199], v[76:77], s[24:25]
	v_mul_f64 v[76:77], v[76:77], s[4:5]
	v_add_f64 v[78:79], v[78:79], -v[188:189]
	v_fma_f64 v[188:189], v[80:81], s[30:31], v[247:248]
	v_add_f64 v[154:155], v[154:155], v[216:217]
	v_add_f64 v[2:3], v[78:79], v[2:3]
	;; [unrolled: 1-line block ×3, first 2 shown]
	v_fma_f64 v[188:189], v[82:83], s[30:31], -v[251:252]
	v_add_f64 v[78:79], v[154:155], v[194:195]
	v_add_f64 v[2:3], v[58:59], v[2:3]
	v_mul_f64 v[58:59], v[214:215], s[14:15]
	v_add_f64 v[32:33], v[188:189], v[32:33]
	v_fma_f64 v[188:189], v[80:81], s[30:31], -v[247:248]
	v_add_f64 v[78:79], v[78:79], v[226:227]
	v_add_f64 v[22:23], v[188:189], v[22:23]
	v_fma_f64 v[188:189], v[82:83], s[30:31], v[251:252]
	v_add_f64 v[8:9], v[78:79], v[8:9]
	v_mul_f64 v[78:79], v[82:83], s[18:19]
	v_add_f64 v[188:189], v[188:189], v[237:238]
	v_fma_f64 v[237:238], v[80:81], s[26:27], v[190:191]
	v_fma_f64 v[190:191], v[80:81], s[26:27], -v[190:191]
	v_add_f64 v[8:9], v[8:9], v[18:19]
	v_mul_f64 v[18:19], v[66:67], s[30:31]
	v_add_f64 v[72:73], v[237:238], v[72:73]
	v_add_f64 v[24:25], v[190:191], v[24:25]
	;; [unrolled: 1-line block ×3, first 2 shown]
	v_fma_f64 v[218:219], v[82:83], s[26:27], -v[198:199]
	v_fma_f64 v[198:199], v[82:83], s[26:27], v[198:199]
	v_add_f64 v[8:9], v[8:9], v[243:244]
	v_add_f64 v[190:191], v[190:191], v[192:193]
	;; [unrolled: 1-line block ×3, first 2 shown]
	v_mul_f64 v[218:219], v[228:229], s[34:35]
	v_add_f64 v[30:31], v[198:199], v[30:31]
	v_mul_f64 v[198:199], v[68:69], s[4:5]
	v_add_f64 v[8:9], v[8:9], v[52:53]
	v_add_f64 v[154:155], v[190:191], v[70:71]
	v_mul_f64 v[190:191], v[245:246], s[12:13]
	v_fma_f64 v[232:233], v[84:85], s[20:21], v[218:219]
	v_fma_f64 v[218:219], v[84:85], s[20:21], -v[218:219]
	v_fma_f64 v[216:217], v[66:67], s[16:17], -v[198:199]
	v_fma_f64 v[198:199], v[66:67], s[16:17], v[198:199]
	v_add_f64 v[154:155], v[154:155], v[38:39]
	v_fma_f64 v[192:193], v[204:205], s[6:7], v[190:191]
	v_add_f64 v[26:27], v[232:233], v[26:27]
	v_mul_f64 v[232:233], v[68:69], s[34:35]
	v_add_f64 v[22:23], v[218:219], v[22:23]
	v_add_f64 v[56:57], v[216:217], v[56:57]
	v_mul_f64 v[216:217], v[206:207], s[36:37]
	v_fma_f64 v[190:191], v[204:205], s[6:7], -v[190:191]
	v_add_f64 v[30:31], v[198:199], v[30:31]
	v_add_f64 v[6:7], v[154:155], v[6:7]
	v_mul_f64 v[154:155], v[82:83], s[6:7]
	v_fma_f64 v[218:219], v[66:67], s[20:21], v[232:233]
	v_fma_f64 v[237:238], v[66:67], s[20:21], -v[232:233]
	v_add_f64 v[6:7], v[6:7], v[20:21]
	v_add_f64 v[154:155], v[154:155], v[34:35]
	;; [unrolled: 1-line block ×3, first 2 shown]
	v_mul_f64 v[218:219], v[228:229], s[4:5]
	v_add_f64 v[32:33], v[237:238], v[32:33]
	v_add_f64 v[6:7], v[6:7], v[212:213]
	v_fma_f64 v[232:233], v[84:85], s[16:17], v[218:219]
	v_fma_f64 v[218:219], v[84:85], s[16:17], -v[218:219]
	v_add_f64 v[6:7], v[6:7], v[230:231]
	v_add_f64 v[72:73], v[232:233], v[72:73]
	;; [unrolled: 1-line block ×3, first 2 shown]
	v_fma_f64 v[218:219], v[210:211], s[16:17], v[216:217]
	v_fma_f64 v[216:217], v[210:211], s[16:17], -v[216:217]
	v_add_f64 v[26:27], v[218:219], v[26:27]
	v_mul_f64 v[218:219], v[62:63], s[36:37]
	v_add_f64 v[22:23], v[216:217], v[22:23]
	v_add_f64 v[26:27], v[192:193], v[26:27]
	v_fma_f64 v[216:217], v[208:209], s[16:17], v[218:219]
	v_mul_f64 v[192:193], v[60:61], s[12:13]
	v_fma_f64 v[232:233], v[208:209], s[16:17], -v[218:219]
	v_add_f64 v[22:23], v[190:191], v[22:23]
	v_mul_f64 v[60:61], v[60:61], s[34:35]
	v_add_f64 v[188:189], v[216:217], v[188:189]
	v_mul_f64 v[216:217], v[206:207], s[40:41]
	v_fma_f64 v[190:191], v[64:65], s[6:7], v[192:193]
	v_fma_f64 v[198:199], v[64:65], s[6:7], -v[192:193]
	v_add_f64 v[32:33], v[232:233], v[32:33]
	v_fma_f64 v[218:219], v[210:211], s[18:19], v[216:217]
	v_fma_f64 v[216:217], v[210:211], s[18:19], -v[216:217]
	v_add_f64 v[188:189], v[190:191], v[188:189]
	;; [unrolled: 3-line block ×3, first 2 shown]
	v_add_f64 v[72:73], v[218:219], v[72:73]
	v_add_f64 v[24:25], v[216:217], v[24:25]
	;; [unrolled: 1-line block ×3, first 2 shown]
	v_mul_f64 v[190:191], v[62:63], s[40:41]
	v_add_f64 v[12:13], v[12:13], v[24:25]
	v_fma_f64 v[24:25], v[208:209], s[18:19], v[190:191]
	v_fma_f64 v[192:193], v[208:209], s[18:19], -v[190:191]
	v_mul_f64 v[190:191], v[206:207], s[28:29]
	v_add_f64 v[24:25], v[24:25], v[30:31]
	v_mul_f64 v[30:31], v[245:246], s[40:41]
	v_add_f64 v[56:57], v[192:193], v[56:57]
	s_waitcnt vmcnt(0)
	v_add_f64 v[30:31], v[36:37], -v[30:31]
	s_clause 0x1
	buffer_load_dword v36, off, s[52:55], 0 offset:316
	buffer_load_dword v37, off, s[52:55], 0 offset:320
	s_waitcnt vmcnt(0)
	v_add_f64 v[70:71], v[36:37], -v[190:191]
	s_clause 0x1
	buffer_load_dword v36, off, s[52:55], 0 offset:284
	buffer_load_dword v37, off, s[52:55], 0 offset:288
	v_mul_f64 v[190:191], v[249:250], s[14:15]
	v_add_f64 v[2:3], v[70:71], v[2:3]
	v_mul_f64 v[70:71], v[82:83], s[20:21]
	v_add_f64 v[30:31], v[30:31], v[2:3]
	s_waitcnt vmcnt(0)
	v_add_f64 v[58:59], v[36:37], -v[58:59]
	s_clause 0x1
	buffer_load_dword v36, off, s[52:55], 0 offset:308
	buffer_load_dword v37, off, s[52:55], 0 offset:312
	v_add_f64 v[10:11], v[58:59], v[10:11]
	v_mul_f64 v[58:59], v[214:215], s[4:5]
	s_waitcnt vmcnt(0)
	v_add_f64 v[70:71], v[70:71], v[36:37]
	s_clause 0x5
	buffer_load_dword v36, off, s[52:55], 0 offset:268
	buffer_load_dword v37, off, s[52:55], 0 offset:272
	;; [unrolled: 1-line block ×6, first 2 shown]
	v_add_f64 v[0:1], v[70:71], v[0:1]
	v_mul_f64 v[70:71], v[208:209], s[26:27]
	s_waitcnt vmcnt(4)
	v_add_f64 v[38:39], v[78:79], v[36:37]
	s_waitcnt vmcnt(2)
	v_add_f64 v[18:19], v[18:19], v[20:21]
	v_mul_f64 v[20:21], v[228:229], s[38:39]
	v_mul_f64 v[78:79], v[214:215], s[12:13]
	v_add_f64 v[38:39], v[38:39], v[156:157]
	v_add_f64 v[0:1], v[18:19], v[0:1]
	s_waitcnt vmcnt(0)
	v_add_f64 v[20:21], v[34:35], -v[20:21]
	s_clause 0x3
	buffer_load_dword v34, off, s[52:55], 0 offset:212
	buffer_load_dword v35, off, s[52:55], 0 offset:216
	;; [unrolled: 1-line block ×4, first 2 shown]
	v_add_f64 v[78:79], v[86:87], -v[78:79]
	v_fma_f64 v[86:87], v[80:81], s[16:17], -v[58:59]
	v_fma_f64 v[58:59], v[80:81], s[16:17], v[58:59]
	v_fma_f64 v[80:81], v[82:83], s[16:17], v[76:77]
	v_fma_f64 v[76:77], v[82:83], s[16:17], -v[76:77]
	v_mul_f64 v[82:83], v[66:67], s[6:7]
	v_mul_f64 v[18:19], v[64:65], s[18:19]
	;; [unrolled: 1-line block ×3, first 2 shown]
	v_add_f64 v[10:11], v[20:21], v[10:11]
	v_mul_f64 v[20:21], v[228:229], s[28:29]
	v_add_f64 v[16:17], v[78:79], v[16:17]
	v_mul_f64 v[78:79], v[66:67], s[18:19]
	;; [unrolled: 2-line block ×3, first 2 shown]
	v_add_f64 v[80:81], v[80:81], v[234:235]
	v_add_f64 v[28:29], v[86:87], v[28:29]
	;; [unrolled: 1-line block ×3, first 2 shown]
	v_fma_f64 v[158:159], v[64:65], s[30:31], -v[54:55]
	v_fma_f64 v[54:55], v[64:65], s[30:31], v[54:55]
	v_mul_f64 v[154:155], v[249:250], s[12:13]
	v_add_f64 v[78:79], v[78:79], v[74:75]
	v_fma_f64 v[74:75], v[84:85], s[26:27], -v[20:21]
	v_fma_f64 v[68:69], v[66:67], s[26:27], v[58:59]
	v_fma_f64 v[58:59], v[66:67], s[26:27], -v[58:59]
	v_add_f64 v[66:67], v[76:77], v[152:153]
	v_mul_f64 v[76:77], v[208:209], s[30:31]
	v_fma_f64 v[20:21], v[84:85], s[26:27], v[20:21]
	v_mul_f64 v[84:85], v[206:207], s[22:23]
	v_mul_f64 v[152:153], v[200:201], s[30:31]
	v_fma_f64 v[194:195], v[200:201], s[6:7], v[154:155]
	v_add_f64 v[54:55], v[54:55], v[24:25]
	v_fma_f64 v[154:155], v[200:201], s[6:7], -v[154:155]
	v_add_f64 v[56:57], v[158:159], v[56:57]
	v_fma_f64 v[158:159], v[200:201], s[18:19], -v[190:191]
	v_add_f64 v[28:29], v[74:75], v[28:29]
	v_add_f64 v[52:53], v[68:69], v[80:81]
	;; [unrolled: 1-line block ×3, first 2 shown]
	v_mul_f64 v[78:79], v[64:65], s[26:27]
	v_add_f64 v[58:59], v[58:59], v[66:67]
	v_add_f64 v[4:5], v[20:21], v[4:5]
	v_mul_f64 v[20:21], v[62:63], s[12:13]
	v_add_f64 v[84:85], v[222:223], -v[84:85]
	v_mul_f64 v[74:75], v[245:246], s[24:25]
	v_mul_f64 v[66:67], v[64:65], s[16:17]
	v_fma_f64 v[62:63], v[208:209], s[6:7], v[20:21]
	v_fma_f64 v[20:21], v[208:209], s[6:7], -v[20:21]
	v_add_f64 v[74:75], v[224:225], -v[74:75]
	v_add_f64 v[66:67], v[66:67], v[239:240]
	v_add_f64 v[52:53], v[62:63], v[52:53]
	;; [unrolled: 1-line block ×3, first 2 shown]
	s_waitcnt vmcnt(2)
	v_add_f64 v[34:35], v[82:83], v[34:35]
	s_waitcnt vmcnt(0)
	v_add_f64 v[70:71], v[70:71], v[36:37]
	s_clause 0x1
	buffer_load_dword v36, off, s[52:55], 0 offset:12
	buffer_load_dword v37, off, s[52:55], 0 offset:16
	v_mul_f64 v[82:83], v[228:229], s[14:15]
	v_add_f64 v[34:35], v[34:35], v[38:39]
	v_add_f64 v[0:1], v[70:71], v[0:1]
	v_mul_f64 v[70:71], v[249:250], s[24:25]
	v_add_f64 v[82:83], v[196:197], -v[82:83]
	v_fma_f64 v[196:197], v[200:201], s[18:19], v[190:191]
	v_add_f64 v[16:17], v[82:83], v[16:17]
	v_mul_f64 v[82:83], v[208:209], s[20:21]
	v_add_f64 v[16:17], v[84:85], v[16:17]
	v_add_f64 v[82:83], v[82:83], v[220:221]
	v_mul_f64 v[84:85], v[245:246], s[34:35]
	v_add_f64 v[74:75], v[74:75], v[16:17]
	v_add_f64 v[62:63], v[82:83], v[68:69]
	v_mul_f64 v[68:69], v[253:254], s[34:35]
	v_mul_f64 v[82:83], v[253:254], s[24:25]
	s_waitcnt vmcnt(0)
	v_add_f64 v[14:15], v[36:37], -v[14:15]
	s_clause 0x1
	buffer_load_dword v36, off, s[52:55], 0 offset:4
	buffer_load_dword v37, off, s[52:55], 0 offset:8
	v_add_f64 v[10:11], v[14:15], v[10:11]
	v_mul_f64 v[14:15], v[206:207], s[12:13]
	s_waitcnt vmcnt(0)
	v_add_f64 v[76:77], v[76:77], v[36:37]
	s_clause 0x5
	buffer_load_dword v36, off, s[52:55], 0 offset:220
	buffer_load_dword v37, off, s[52:55], 0 offset:224
	buffer_load_dword v38, off, s[52:55], 0 offset:436
	buffer_load_dword v39, off, s[52:55], 0 offset:440
	buffer_load_dword v80, off, s[52:55], 0 offset:428
	buffer_load_dword v81, off, s[52:55], 0 offset:432
	v_add_f64 v[34:35], v[76:77], v[34:35]
	v_mul_f64 v[76:77], v[200:201], s[20:21]
	v_add_f64 v[66:67], v[66:67], v[34:35]
	s_waitcnt vmcnt(4)
	v_add_f64 v[18:19], v[18:19], v[36:37]
	v_mul_f64 v[36:37], v[245:246], s[4:5]
	s_waitcnt vmcnt(0)
	v_add_f64 v[78:79], v[78:79], v[80:81]
	s_clause 0x3
	buffer_load_dword v80, off, s[52:55], 0 offset:444
	buffer_load_dword v81, off, s[52:55], 0 offset:448
	;; [unrolled: 1-line block ×4, first 2 shown]
	v_add_f64 v[36:37], v[38:39], -v[36:37]
	v_fma_f64 v[38:39], v[210:211], s[6:7], -v[14:15]
	v_fma_f64 v[14:15], v[210:211], s[6:7], v[14:15]
	v_add_f64 v[62:63], v[78:79], v[62:63]
	v_add_f64 v[78:79], v[18:19], v[0:1]
	;; [unrolled: 1-line block ×5, first 2 shown]
	v_fma_f64 v[14:15], v[64:65], s[20:21], v[60:61]
	v_fma_f64 v[60:61], v[64:65], s[20:21], -v[60:61]
	v_fma_f64 v[64:65], v[202:203], s[26:27], v[82:83]
	v_fma_f64 v[82:83], v[202:203], s[26:27], -v[82:83]
	v_mul_f64 v[38:39], v[253:254], s[36:37]
	v_add_f64 v[52:53], v[14:15], v[52:53]
	v_add_f64 v[60:61], v[60:61], v[20:21]
	s_waitcnt vmcnt(2)
	v_add_f64 v[8:9], v[8:9], v[80:81]
	s_waitcnt vmcnt(0)
	v_add_f64 v[6:7], v[6:7], v[86:87]
	s_clause 0x7
	buffer_load_dword v86, off, s[52:55], 0 offset:396
	buffer_load_dword v87, off, s[52:55], 0 offset:400
	;; [unrolled: 1-line block ×8, first 2 shown]
	v_mul_f64 v[80:81], v[200:201], s[16:17]
	s_waitcnt vmcnt(6)
	v_add_f64 v[38:39], v[86:87], -v[38:39]
	s_waitcnt vmcnt(4)
	v_add_f64 v[80:81], v[80:81], v[2:3]
	v_mul_f64 v[2:3], v[253:254], s[12:13]
	s_waitcnt vmcnt(2)
	v_add_f64 v[58:59], v[58:59], -v[68:69]
	s_waitcnt vmcnt(0)
	v_add_f64 v[36:37], v[76:77], v[36:37]
	s_clause 0x3
	buffer_load_dword v68, off, s[52:55], 0 offset:364
	buffer_load_dword v69, off, s[52:55], 0 offset:368
	;; [unrolled: 1-line block ×4, first 2 shown]
	v_fma_f64 v[86:87], v[204:205], s[20:21], -v[84:85]
	v_fma_f64 v[84:85], v[204:205], s[20:21], v[84:85]
	v_fma_f64 v[192:193], v[202:203], s[6:7], v[2:3]
	v_fma_f64 v[16:17], v[202:203], s[6:7], -v[2:3]
	s_clause 0x1
	buffer_load_dword v2, off, s[52:55], 0 offset:356
	buffer_load_dword v3, off, s[52:55], 0 offset:360
	v_add_f64 v[19:20], v[36:37], v[66:67]
	v_add_f64 v[28:29], v[86:87], v[28:29]
	v_fma_f64 v[86:87], v[202:203], s[18:19], -v[156:157]
	v_fma_f64 v[156:157], v[202:203], s[18:19], v[156:157]
	v_add_f64 v[84:85], v[84:85], v[4:5]
	v_add_f64 v[35:36], v[154:155], v[56:57]
	;; [unrolled: 1-line block ×7, first 2 shown]
	s_waitcnt vmcnt(2)
	v_add_f64 v[68:69], v[68:69], -v[76:77]
	v_fma_f64 v[76:77], v[200:201], s[26:27], -v[70:71]
	v_fma_f64 v[70:71], v[200:201], s[26:27], v[70:71]
	s_waitcnt vmcnt(0)
	v_add_f64 v[152:153], v[152:153], v[2:3]
	s_clause 0x1
	buffer_load_dword v2, off, s[52:55], 0 offset:380
	buffer_load_dword v3, off, s[52:55], 0 offset:384
	v_add_f64 v[0:1], v[76:77], v[32:33]
	v_add_f64 v[4:5], v[70:71], v[188:189]
	s_waitcnt vmcnt(0)
	v_add_f64 v[8:9], v[8:9], v[2:3]
	s_clause 0x1
	buffer_load_dword v2, off, s[52:55], 0 offset:340
	buffer_load_dword v3, off, s[52:55], 0 offset:344
	s_waitcnt vmcnt(0)
	v_add_f64 v[198:199], v[6:7], v[2:3]
	v_add_f64 v[6:7], v[82:83], v[22:23]
	;; [unrolled: 1-line block ×3, first 2 shown]
	s_clause 0x1
	buffer_load_dword v10, off, s[52:55], 0 offset:332
	buffer_load_dword v11, off, s[52:55], 0 offset:336
	v_add_f64 v[2:3], v[64:65], v[26:27]
	v_add_f64 v[27:28], v[196:197], v[52:53]
	;; [unrolled: 1-line block ×5, first 2 shown]
	s_waitcnt vmcnt(0)
	v_add_f64 v[33:34], v[8:9], v[10:11]
	s_clause 0x1
	buffer_load_dword v8, off, s[52:55], 0 offset:348
	buffer_load_dword v9, off, s[52:55], 0 offset:352
	v_add_f64 v[11:12], v[194:195], v[54:55]
	v_add_f64 v[54:55], v[156:157], v[84:85]
	s_waitcnt vmcnt(0)
	v_add_f64 v[31:32], v[198:199], v[8:9]
	s_clause 0x1
	buffer_load_dword v8, off, s[52:55], 0 offset:208
	buffer_load_dword v9, off, s[52:55], 0 offset:204
	s_waitcnt vmcnt(1)
	v_mul_u32_u24_e32 v8, 26, v8
	s_waitcnt vmcnt(0)
	v_or_b32_e32 v8, v8, v9
	v_lshlrev_b32_e32 v8, 4, v8
	ds_write_b128 v8, v[31:34]
	ds_write_b128 v8, v[27:30] offset:32
	ds_write_b128 v8, v[23:26] offset:64
	;; [unrolled: 1-line block ×12, first 2 shown]
.LBB0_17:
	s_or_b32 exec_lo, exec_lo, s1
	s_waitcnt lgkmcnt(0)
	s_waitcnt_vscnt null, 0x0
	s_barrier
	buffer_gl0_inv
	ds_read_b128 v[56:59], v236
	ds_read_b128 v[52:55], v236 offset:1872
	ds_read_b128 v[72:75], v236 offset:12480
	ds_read_b128 v[64:67], v236 offset:14352
	ds_read_b128 v[84:87], v236 offset:6240
	ds_read_b128 v[60:63], v236 offset:3744
	ds_read_b128 v[80:83], v236 offset:8112
	ds_read_b128 v[76:79], v236 offset:9984
	ds_read_b128 v[68:71], v236 offset:16224
	s_and_saveexec_b32 s0, vcc_lo
	s_cbranch_execz .LBB0_19
; %bb.18:
	ds_read_b128 v[40:43], v236 offset:5616
	ds_read_b128 v[48:51], v236 offset:11856
	;; [unrolled: 1-line block ×3, first 2 shown]
.LBB0_19:
	s_or_b32 exec_lo, exec_lo, s0
	s_waitcnt lgkmcnt(2)
	v_mul_f64 v[10:11], v[98:99], v[80:81]
	v_mul_f64 v[14:15], v[90:91], v[64:65]
	;; [unrolled: 1-line block ×7, first 2 shown]
	s_waitcnt lgkmcnt(0)
	v_mul_f64 v[26:27], v[114:115], v[46:47]
	v_mul_f64 v[28:29], v[118:119], v[48:49]
	v_mul_f64 v[4:5], v[94:95], v[74:75]
	v_mul_f64 v[16:17], v[106:107], v[78:79]
	v_mul_f64 v[18:19], v[106:107], v[76:77]
	v_mul_f64 v[20:21], v[102:103], v[70:71]
	v_mul_f64 v[22:23], v[102:103], v[68:69]
	v_mul_f64 v[24:25], v[118:119], v[50:51]
	v_mul_f64 v[30:31], v[114:115], v[44:45]
	s_mov_b32 s0, 0xe8584caa
	s_mov_b32 s1, 0xbfebb67a
	;; [unrolled: 1-line block ×4, first 2 shown]
	s_barrier
	v_fma_f64 v[10:11], v[96:97], v[82:83], -v[10:11]
	v_fma_f64 v[66:67], v[88:89], v[66:67], -v[14:15]
	v_fma_f64 v[32:33], v[108:109], v[84:85], v[0:1]
	v_fma_f64 v[34:35], v[108:109], v[86:87], -v[2:3]
	v_fma_f64 v[38:39], v[92:93], v[74:75], -v[6:7]
	v_fma_f64 v[8:9], v[96:97], v[80:81], v[8:9]
	v_fma_f64 v[64:65], v[88:89], v[64:65], v[12:13]
	;; [unrolled: 1-line block ×3, first 2 shown]
	v_fma_f64 v[6:7], v[116:117], v[50:51], -v[28:29]
	v_fma_f64 v[36:37], v[92:93], v[72:73], v[4:5]
	v_fma_f64 v[12:13], v[104:105], v[76:77], v[16:17]
	v_fma_f64 v[14:15], v[104:105], v[78:79], -v[18:19]
	v_fma_f64 v[19:20], v[100:101], v[68:69], v[20:21]
	v_fma_f64 v[21:22], v[100:101], v[70:71], -v[22:23]
	;; [unrolled: 2-line block ×3, first 2 shown]
	buffer_gl0_inv
	v_add_f64 v[72:73], v[54:55], v[10:11]
	v_add_f64 v[27:28], v[10:11], v[66:67]
	;; [unrolled: 1-line block ×3, first 2 shown]
	v_add_f64 v[78:79], v[10:11], -v[66:67]
	v_add_f64 v[23:24], v[34:35], v[38:39]
	v_add_f64 v[68:69], v[34:35], -v[38:39]
	v_add_f64 v[25:26], v[8:9], v[64:65]
	v_add_f64 v[34:35], v[58:59], v[34:35]
	;; [unrolled: 1-line block ×3, first 2 shown]
	v_add_f64 v[8:9], v[8:9], -v[64:65]
	v_add_f64 v[16:17], v[32:33], v[36:37]
	v_add_f64 v[74:75], v[60:61], v[12:13]
	;; [unrolled: 1-line block ×5, first 2 shown]
	v_add_f64 v[31:32], v[32:33], -v[36:37]
	v_add_f64 v[80:81], v[14:15], -v[21:22]
	;; [unrolled: 1-line block ×3, first 2 shown]
	v_add_f64 v[46:47], v[2:3], v[0:1]
	v_add_f64 v[48:49], v[6:7], v[4:5]
	v_add_f64 v[84:85], v[2:3], -v[0:1]
	v_fma_f64 v[54:55], v[27:28], -0.5, v[54:55]
	v_add_f64 v[11:12], v[50:51], v[36:37]
	v_fma_f64 v[58:59], v[23:24], -0.5, v[58:59]
	v_fma_f64 v[52:53], v[25:26], -0.5, v[52:53]
	v_add_f64 v[13:14], v[34:35], v[38:39]
	v_fma_f64 v[56:57], v[16:17], -0.5, v[56:57]
	v_add_f64 v[15:16], v[70:71], v[64:65]
	;; [unrolled: 2-line block ×3, first 2 shown]
	v_fma_f64 v[44:45], v[44:45], -0.5, v[62:63]
	v_add_f64 v[62:63], v[6:7], -v[4:5]
	v_add_f64 v[19:20], v[74:75], v[19:20]
	v_add_f64 v[21:22], v[76:77], v[21:22]
	v_fma_f64 v[46:47], v[46:47], -0.5, v[40:41]
	v_fma_f64 v[86:87], v[48:49], -0.5, v[42:43]
	v_fma_f64 v[33:34], v[8:9], s[4:5], v[54:55]
	v_fma_f64 v[37:38], v[8:9], s[0:1], v[54:55]
	buffer_load_dword v8, off, s[52:55], 0 offset:252 ; 4-byte Folded Reload
	v_fma_f64 v[25:26], v[31:32], s[4:5], v[58:59]
	v_fma_f64 v[29:30], v[31:32], s[0:1], v[58:59]
	;; [unrolled: 1-line block ×10, first 2 shown]
	s_waitcnt vmcnt(0)
	ds_write_b128 v8, v[11:14]
	ds_write_b128 v8, v[23:26] offset:416
	ds_write_b128 v8, v[27:30] offset:832
	buffer_load_dword v8, off, s[52:55], 0 offset:244 ; 4-byte Folded Reload
	v_fma_f64 v[44:45], v[62:63], s[0:1], v[46:47]
	v_fma_f64 v[48:49], v[62:63], s[4:5], v[46:47]
	;; [unrolled: 1-line block ×4, first 2 shown]
	s_waitcnt vmcnt(0)
	ds_write_b128 v8, v[15:18]
	ds_write_b128 v8, v[31:34] offset:416
	ds_write_b128 v8, v[35:38] offset:832
	buffer_load_dword v8, off, s[52:55], 0 offset:236 ; 4-byte Folded Reload
	s_waitcnt vmcnt(0)
	ds_write_b128 v8, v[19:22]
	ds_write_b128 v8, v[52:55] offset:416
	ds_write_b128 v8, v[56:59] offset:832
	s_and_saveexec_b32 s0, vcc_lo
	s_cbranch_execz .LBB0_21
; %bb.20:
	v_add_f64 v[6:7], v[42:43], v[6:7]
	v_add_f64 v[8:9], v[40:41], v[2:3]
	;; [unrolled: 1-line block ×3, first 2 shown]
	buffer_load_dword v5, off, s[52:55], 0 offset:228 ; 4-byte Folded Reload
	v_add_f64 v[0:1], v[8:9], v[0:1]
	v_mov_b32_e32 v4, 4
	s_waitcnt vmcnt(0)
	v_lshlrev_b32_sdwa v4, v4, v5 dst_sel:DWORD dst_unused:UNUSED_PAD src0_sel:DWORD src1_sel:WORD_0
	ds_write_b128 v4, v[44:47] offset:416
	ds_write_b128 v4, v[0:3]
	ds_write_b128 v4, v[48:51] offset:832
.LBB0_21:
	s_or_b32 exec_lo, exec_lo, s0
	s_waitcnt lgkmcnt(0)
	s_barrier
	buffer_gl0_inv
	ds_read_b128 v[0:3], v236 offset:3744
	ds_read_b128 v[4:7], v236 offset:7488
	;; [unrolled: 1-line block ×8, first 2 shown]
	s_mov_b32 s4, 0x134454ff
	s_mov_b32 s5, 0xbfee6f0e
	s_mov_b32 s13, 0x3fee6f0e
	s_mov_b32 s12, s4
	s_mov_b32 s0, 0x4755a5e
	s_mov_b32 s1, 0xbfe2cf23
	s_mov_b32 s7, 0x3fe2cf23
	s_mov_b32 s6, s0
	s_waitcnt lgkmcnt(7)
	v_mul_f64 v[8:9], v[150:151], v[2:3]
	s_waitcnt lgkmcnt(6)
	v_mul_f64 v[37:38], v[146:147], v[6:7]
	v_mul_f64 v[39:40], v[146:147], v[4:5]
	s_waitcnt lgkmcnt(5)
	v_mul_f64 v[41:42], v[142:143], v[13:14]
	;; [unrolled: 3-line block ×3, first 2 shown]
	v_mul_f64 v[35:36], v[150:151], v[0:1]
	v_mul_f64 v[52:53], v[138:139], v[15:16]
	s_waitcnt lgkmcnt(3)
	v_mul_f64 v[58:59], v[134:135], v[21:22]
	v_mul_f64 v[60:61], v[134:135], v[19:20]
	s_waitcnt lgkmcnt(2)
	v_mul_f64 v[62:63], v[130:131], v[25:26]
	v_mul_f64 v[64:65], v[130:131], v[23:24]
	s_waitcnt lgkmcnt(1)
	v_mul_f64 v[66:67], v[126:127], v[29:30]
	v_mul_f64 v[68:69], v[126:127], v[27:28]
	s_waitcnt lgkmcnt(0)
	v_mul_f64 v[70:71], v[122:123], v[33:34]
	v_mul_f64 v[72:73], v[122:123], v[31:32]
	v_fma_f64 v[8:9], v[148:149], v[0:1], v[8:9]
	v_fma_f64 v[37:38], v[144:145], v[4:5], v[37:38]
	v_fma_f64 v[39:40], v[144:145], v[6:7], -v[39:40]
	v_fma_f64 v[10:11], v[140:141], v[11:12], v[41:42]
	v_fma_f64 v[12:13], v[140:141], v[13:14], -v[54:55]
	;; [unrolled: 2-line block ×3, first 2 shown]
	v_fma_f64 v[17:18], v[136:137], v[17:18], -v[52:53]
	v_fma_f64 v[19:20], v[132:133], v[19:20], v[58:59]
	v_fma_f64 v[21:22], v[132:133], v[21:22], -v[60:61]
	v_fma_f64 v[23:24], v[128:129], v[23:24], v[62:63]
	;; [unrolled: 2-line block ×4, first 2 shown]
	v_fma_f64 v[33:34], v[120:121], v[33:34], -v[72:73]
	ds_read_b128 v[0:3], v236
	ds_read_b128 v[4:7], v236 offset:1872
	s_waitcnt lgkmcnt(0)
	s_barrier
	buffer_gl0_inv
	v_add_f64 v[58:59], v[8:9], -v[37:38]
	v_add_f64 v[64:65], v[37:38], -v[8:9]
	v_add_f64 v[52:53], v[37:38], v[10:11]
	v_add_f64 v[70:71], v[39:40], v[12:13]
	;; [unrolled: 1-line block ×3, first 2 shown]
	v_add_f64 v[60:61], v[14:15], -v[10:11]
	v_add_f64 v[76:77], v[35:36], v[17:18]
	v_add_f64 v[54:55], v[35:36], -v[17:18]
	v_add_f64 v[56:57], v[39:40], -v[12:13]
	;; [unrolled: 1-line block ×4, first 2 shown]
	v_add_f64 v[80:81], v[23:24], v[27:28]
	v_add_f64 v[90:91], v[25:26], v[29:30]
	;; [unrolled: 1-line block ×6, first 2 shown]
	v_add_f64 v[8:9], v[8:9], -v[14:15]
	v_add_f64 v[78:79], v[17:18], -v[12:13]
	;; [unrolled: 1-line block ×5, first 2 shown]
	v_add_f64 v[86:87], v[4:5], v[19:20]
	v_add_f64 v[88:89], v[21:22], -v[33:34]
	v_fma_f64 v[52:53], v[52:53], -0.5, v[0:1]
	v_fma_f64 v[70:71], v[70:71], -0.5, v[2:3]
	;; [unrolled: 1-line block ×3, first 2 shown]
	v_add_f64 v[94:95], v[25:26], -v[29:30]
	v_fma_f64 v[2:3], v[76:77], -0.5, v[2:3]
	v_add_f64 v[96:97], v[19:20], -v[23:24]
	v_add_f64 v[98:99], v[31:32], -v[27:28]
	;; [unrolled: 1-line block ×3, first 2 shown]
	v_add_f64 v[104:105], v[6:7], v[21:22]
	v_add_f64 v[19:20], v[19:20], -v[31:32]
	v_add_f64 v[62:63], v[23:24], -v[27:28]
	v_fma_f64 v[80:81], v[80:81], -0.5, v[4:5]
	v_fma_f64 v[4:5], v[84:85], -0.5, v[4:5]
	v_add_f64 v[37:38], v[41:42], v[37:38]
	v_add_f64 v[41:42], v[58:59], v[60:61]
	v_fma_f64 v[58:59], v[90:91], -0.5, v[6:7]
	v_fma_f64 v[6:7], v[92:93], -0.5, v[6:7]
	v_add_f64 v[39:40], v[68:69], v[39:40]
	v_add_f64 v[106:107], v[21:22], -v[25:26]
	v_add_f64 v[21:22], v[25:26], -v[21:22]
	;; [unrolled: 1-line block ×3, first 2 shown]
	v_add_f64 v[60:61], v[64:65], v[66:67]
	v_add_f64 v[64:65], v[74:75], v[78:79]
	v_fma_f64 v[68:69], v[54:55], s[4:5], v[52:53]
	v_fma_f64 v[52:53], v[54:55], s[12:13], v[52:53]
	;; [unrolled: 1-line block ×5, first 2 shown]
	v_add_f64 v[35:36], v[35:36], v[82:83]
	v_fma_f64 v[82:83], v[72:73], s[4:5], v[2:3]
	v_fma_f64 v[2:3], v[72:73], s[12:13], v[2:3]
	;; [unrolled: 1-line block ×3, first 2 shown]
	v_add_f64 v[23:24], v[86:87], v[23:24]
	v_add_f64 v[66:67], v[96:97], v[98:99]
	v_fma_f64 v[86:87], v[88:89], s[4:5], v[80:81]
	v_fma_f64 v[80:81], v[88:89], s[12:13], v[80:81]
	;; [unrolled: 1-line block ×7, first 2 shown]
	v_add_f64 v[10:11], v[37:38], v[10:11]
	v_add_f64 v[12:13], v[39:40], v[12:13]
	v_fma_f64 v[4:5], v[94:95], s[4:5], v[4:5]
	v_add_f64 v[98:99], v[21:22], v[108:109]
	v_fma_f64 v[21:22], v[56:57], s[0:1], v[68:69]
	v_fma_f64 v[37:38], v[56:57], s[6:7], v[52:53]
	;; [unrolled: 1-line block ×5, first 2 shown]
	v_add_f64 v[102:103], v[27:28], -v[31:32]
	v_fma_f64 v[68:69], v[8:9], s[6:7], v[82:83]
	v_fma_f64 v[8:9], v[8:9], s[0:1], v[2:3]
	;; [unrolled: 1-line block ×3, first 2 shown]
	v_add_f64 v[23:24], v[23:24], v[27:28]
	v_add_f64 v[25:26], v[104:105], v[25:26]
	v_fma_f64 v[27:28], v[94:95], s[0:1], v[86:87]
	v_fma_f64 v[70:71], v[94:95], s[6:7], v[80:81]
	;; [unrolled: 1-line block ×3, first 2 shown]
	v_add_f64 v[76:77], v[33:34], -v[29:30]
	v_fma_f64 v[78:79], v[19:20], s[6:7], v[96:97]
	v_fma_f64 v[80:81], v[19:20], s[0:1], v[6:7]
	;; [unrolled: 1-line block ×3, first 2 shown]
	s_mov_b32 s0, 0x372fe950
	s_mov_b32 s1, 0x3fd3c6ef
	v_add_f64 v[0:1], v[10:11], v[14:15]
	v_add_f64 v[2:3], v[12:13], v[17:18]
	v_fma_f64 v[74:75], v[88:89], s[6:7], v[4:5]
	v_fma_f64 v[4:5], v[41:42], s[0:1], v[21:22]
	;; [unrolled: 1-line block ×9, first 2 shown]
	v_add_f64 v[84:85], v[100:101], v[102:103]
	v_add_f64 v[25:26], v[25:26], v[29:30]
	v_fma_f64 v[29:30], v[62:63], s[6:7], v[92:93]
	v_add_f64 v[23:24], v[23:24], v[31:32]
	v_fma_f64 v[27:28], v[66:67], s[0:1], v[27:28]
	;; [unrolled: 2-line block ×3, first 2 shown]
	v_fma_f64 v[37:38], v[98:99], s[0:1], v[80:81]
	ds_write_b128 v255, v[0:3]
	ds_write_b128 v255, v[4:7] offset:1248
	ds_write_b128 v255, v[15:18] offset:2496
	;; [unrolled: 1-line block ×4, first 2 shown]
	buffer_load_dword v0, off, s[52:55], 0 offset:260 ; 4-byte Folded Reload
	v_fma_f64 v[31:32], v[84:85], s[0:1], v[72:73]
	v_add_f64 v[25:26], v[25:26], v[33:34]
	v_fma_f64 v[33:34], v[98:99], s[0:1], v[78:79]
	v_fma_f64 v[35:36], v[84:85], s[0:1], v[74:75]
	;; [unrolled: 1-line block ×4, first 2 shown]
	s_waitcnt vmcnt(0)
	ds_write_b128 v0, v[23:26]
	ds_write_b128 v0, v[27:30] offset:1248
	ds_write_b128 v0, v[31:34] offset:2496
	;; [unrolled: 1-line block ×4, first 2 shown]
	s_waitcnt lgkmcnt(0)
	s_barrier
	buffer_gl0_inv
	ds_read_b128 v[60:63], v236
	ds_read_b128 v[52:55], v236 offset:1872
	ds_read_b128 v[76:79], v236 offset:12480
	;; [unrolled: 1-line block ×8, first 2 shown]
	s_and_saveexec_b32 s0, vcc_lo
	s_cbranch_execz .LBB0_23
; %bb.22:
	ds_read_b128 v[40:43], v236 offset:5616
	ds_read_b128 v[44:47], v236 offset:11856
	;; [unrolled: 1-line block ×3, first 2 shown]
.LBB0_23:
	s_or_b32 exec_lo, exec_lo, s0
	s_waitcnt lgkmcnt(4)
	v_mul_f64 v[0:1], v[166:167], v[86:87]
	v_mul_f64 v[2:3], v[170:171], v[78:79]
	;; [unrolled: 1-line block ×4, first 2 shown]
	s_waitcnt lgkmcnt(2)
	v_mul_f64 v[8:9], v[174:175], v[82:83]
	v_mul_f64 v[10:11], v[186:187], v[66:67]
	;; [unrolled: 1-line block ×4, first 2 shown]
	s_waitcnt lgkmcnt(1)
	v_mul_f64 v[16:17], v[178:179], v[70:71]
	s_waitcnt lgkmcnt(0)
	v_mul_f64 v[18:19], v[182:183], v[74:75]
	v_mul_f64 v[20:21], v[178:179], v[68:69]
	;; [unrolled: 1-line block ×3, first 2 shown]
	s_mov_b32 s0, 0xe8584caa
	s_mov_b32 s1, 0xbfebb67a
	;; [unrolled: 1-line block ×4, first 2 shown]
	v_fma_f64 v[0:1], v[164:165], v[84:85], v[0:1]
	v_fma_f64 v[2:3], v[168:169], v[76:77], v[2:3]
	v_fma_f64 v[4:5], v[164:165], v[86:87], -v[4:5]
	v_fma_f64 v[6:7], v[168:169], v[78:79], -v[6:7]
	v_fma_f64 v[8:9], v[172:173], v[80:81], v[8:9]
	v_fma_f64 v[10:11], v[184:185], v[64:65], v[10:11]
	v_fma_f64 v[12:13], v[172:173], v[82:83], -v[12:13]
	v_fma_f64 v[14:15], v[184:185], v[66:67], -v[14:15]
	;; [unrolled: 4-line block ×3, first 2 shown]
	v_add_f64 v[36:37], v[60:61], v[0:1]
	v_add_f64 v[24:25], v[0:1], v[2:3]
	;; [unrolled: 1-line block ×3, first 2 shown]
	v_add_f64 v[38:39], v[4:5], -v[6:7]
	v_add_f64 v[28:29], v[8:9], v[10:11]
	v_add_f64 v[4:5], v[62:63], v[4:5]
	;; [unrolled: 1-line block ×9, first 2 shown]
	v_fma_f64 v[24:25], v[24:25], -0.5, v[60:61]
	v_add_f64 v[60:61], v[0:1], -v[2:3]
	v_fma_f64 v[26:27], v[26:27], -0.5, v[62:63]
	v_add_f64 v[62:63], v[12:13], -v[14:15]
	;; [unrolled: 2-line block ×5, first 2 shown]
	v_fma_f64 v[34:35], v[34:35], -0.5, v[58:59]
	v_add_f64 v[0:1], v[36:37], v[2:3]
	v_add_f64 v[2:3], v[4:5], v[6:7]
	;; [unrolled: 1-line block ×6, first 2 shown]
	v_fma_f64 v[12:13], v[38:39], s[0:1], v[24:25]
	v_fma_f64 v[16:17], v[38:39], s[4:5], v[24:25]
	;; [unrolled: 1-line block ×12, first 2 shown]
	ds_write_b128 v236, v[0:3]
	ds_write_b128 v236, v[4:7] offset:1872
	ds_write_b128 v236, v[8:11] offset:3744
	;; [unrolled: 1-line block ×8, first 2 shown]
	s_and_saveexec_b32 s6, vcc_lo
	s_cbranch_execz .LBB0_25
; %bb.24:
	s_clause 0x3
	buffer_load_dword v8, off, s[52:55], 0 offset:20
	buffer_load_dword v9, off, s[52:55], 0 offset:24
	;; [unrolled: 1-line block ×4, first 2 shown]
	v_mul_f64 v[2:3], v[162:163], v[48:49]
	v_mul_f64 v[6:7], v[162:163], v[50:51]
	v_fma_f64 v[2:3], v[160:161], v[50:51], -v[2:3]
	v_fma_f64 v[6:7], v[160:161], v[48:49], v[6:7]
	s_waitcnt vmcnt(0)
	v_mul_f64 v[0:1], v[10:11], v[44:45]
	v_mul_f64 v[4:5], v[10:11], v[46:47]
	v_fma_f64 v[0:1], v[8:9], v[46:47], -v[0:1]
	v_fma_f64 v[4:5], v[8:9], v[44:45], v[4:5]
	v_add_f64 v[8:9], v[0:1], v[2:3]
	v_add_f64 v[10:11], v[4:5], v[6:7]
	v_add_f64 v[12:13], v[4:5], -v[6:7]
	v_add_f64 v[14:15], v[42:43], v[0:1]
	v_add_f64 v[4:5], v[40:41], v[4:5]
	v_add_f64 v[16:17], v[0:1], -v[2:3]
	v_fma_f64 v[8:9], v[8:9], -0.5, v[42:43]
	v_fma_f64 v[18:19], v[10:11], -0.5, v[40:41]
	v_add_f64 v[2:3], v[14:15], v[2:3]
	v_add_f64 v[0:1], v[4:5], v[6:7]
	v_fma_f64 v[6:7], v[12:13], s[0:1], v[8:9]
	v_fma_f64 v[10:11], v[12:13], s[4:5], v[8:9]
	;; [unrolled: 1-line block ×4, first 2 shown]
	ds_write_b128 v236, v[0:3] offset:5616
	ds_write_b128 v236, v[8:11] offset:11856
	;; [unrolled: 1-line block ×3, first 2 shown]
.LBB0_25:
	s_or_b32 exec_lo, exec_lo, s6
	s_waitcnt lgkmcnt(0)
	s_barrier
	buffer_gl0_inv
	ds_read_b128 v[0:3], v236
	ds_read_b128 v[4:7], v236 offset:9360
	s_clause 0x2
	buffer_load_dword v8, off, s[52:55], 0 offset:36
	buffer_load_dword v9, off, s[52:55], 0 offset:40
	buffer_load_dword v57, off, s[52:55], 0
	s_mov_b32 s0, 0x1c01c01c
	s_mov_b32 s1, 0x3f4c01c0
	s_mul_i32 s4, s9, 0x2490
	s_mul_hi_u32 s5, s8, 0x2490
	s_mul_i32 s6, s8, 0x2490
	s_add_i32 s5, s5, s4
	s_mul_i32 s7, s9, 0xffffe2c0
	s_waitcnt vmcnt(2)
	v_mov_b32_e32 v52, v8
	s_waitcnt vmcnt(1)
	ds_read_b128 v[8:11], v236 offset:1872
	ds_read_b128 v[12:15], v236 offset:7488
	s_clause 0x3
	buffer_load_dword v58, off, s[52:55], 0 offset:44
	buffer_load_dword v59, off, s[52:55], 0 offset:48
	;; [unrolled: 1-line block ×4, first 2 shown]
	s_waitcnt vmcnt(4)
	v_mad_u64_u32 v[42:43], null, s8, v57, 0
	v_mad_u64_u32 v[40:41], null, s10, v52, 0
	s_mul_hi_u32 s10, s8, 0xffffe2c0
	s_sub_i32 s10, s10, s8
	s_add_i32 s10, s10, s7
	v_mad_u64_u32 v[52:53], null, s11, v52, v[41:42]
	v_mov_b32_e32 v41, v52
	v_lshlrev_b64 v[40:41], 4, v[40:41]
	v_add_co_u32 v40, vcc_lo, s2, v40
	v_add_co_ci_u32_e32 v41, vcc_lo, s3, v41, vcc_lo
	s_mul_i32 s2, s8, 0xffffe2c0
	s_waitcnt vmcnt(0) lgkmcnt(3)
	v_mul_f64 v[44:45], v[60:61], v[2:3]
	v_mul_f64 v[46:47], v[60:61], v[0:1]
	s_clause 0x3
	buffer_load_dword v60, off, s[52:55], 0 offset:188
	buffer_load_dword v61, off, s[52:55], 0 offset:192
	;; [unrolled: 1-line block ×4, first 2 shown]
	ds_read_b128 v[16:19], v236 offset:11232
	ds_read_b128 v[20:23], v236 offset:13104
	;; [unrolled: 1-line block ×6, first 2 shown]
	s_clause 0xb
	buffer_load_dword v71, off, s[52:55], 0 offset:60
	buffer_load_dword v72, off, s[52:55], 0 offset:64
	;; [unrolled: 1-line block ×12, first 2 shown]
	v_fma_f64 v[0:1], v[58:59], v[0:1], v[44:45]
	v_mad_u64_u32 v[43:44], null, s9, v57, v[43:44]
	v_fma_f64 v[2:3], v[58:59], v[2:3], -v[46:47]
	v_lshlrev_b64 v[42:43], 4, v[42:43]
	v_add_co_u32 v40, vcc_lo, v40, v42
	v_add_co_ci_u32_e32 v41, vcc_lo, v41, v43, vcc_lo
	v_mul_f64 v[0:1], v[0:1], s[0:1]
	v_mul_f64 v[2:3], v[2:3], s[0:1]
	s_waitcnt vmcnt(12) lgkmcnt(8)
	v_mul_f64 v[48:49], v[62:63], v[6:7]
	v_mul_f64 v[50:51], v[62:63], v[4:5]
	s_waitcnt vmcnt(8) lgkmcnt(7)
	;; [unrolled: 3-line block ×3, first 2 shown]
	v_mul_f64 v[44:45], v[85:86], v[18:19]
	v_mul_f64 v[46:47], v[85:86], v[16:17]
	s_clause 0x3
	buffer_load_dword v73, off, s[52:55], 0 offset:76
	buffer_load_dword v74, off, s[52:55], 0 offset:80
	;; [unrolled: 1-line block ×4, first 2 shown]
	v_fma_f64 v[4:5], v[60:61], v[4:5], v[48:49]
	v_fma_f64 v[6:7], v[60:61], v[6:7], -v[50:51]
	s_waitcnt vmcnt(4) lgkmcnt(3)
	v_mul_f64 v[48:49], v[79:80], v[26:27]
	v_mul_f64 v[50:51], v[79:80], v[24:25]
	s_clause 0x7
	buffer_load_dword v79, off, s[52:55], 0 offset:108
	buffer_load_dword v80, off, s[52:55], 0 offset:112
	buffer_load_dword v81, off, s[52:55], 0 offset:116
	buffer_load_dword v82, off, s[52:55], 0 offset:120
	buffer_load_dword v85, off, s[52:55], 0 offset:140
	buffer_load_dword v86, off, s[52:55], 0 offset:144
	buffer_load_dword v87, off, s[52:55], 0 offset:148
	buffer_load_dword v88, off, s[52:55], 0 offset:152
	v_fma_f64 v[16:17], v[83:84], v[16:17], v[44:45]
	v_fma_f64 v[18:19], v[83:84], v[18:19], -v[46:47]
	v_fma_f64 v[8:9], v[71:72], v[8:9], v[53:54]
	v_fma_f64 v[10:11], v[71:72], v[10:11], -v[55:56]
	v_add_co_u32 v44, vcc_lo, v40, s6
	v_add_co_ci_u32_e32 v45, vcc_lo, s5, v41, vcc_lo
	v_mul_f64 v[4:5], v[4:5], s[0:1]
	v_mul_f64 v[6:7], v[6:7], s[0:1]
	;; [unrolled: 1-line block ×4, first 2 shown]
	s_waitcnt vmcnt(8)
	v_mul_f64 v[57:58], v[75:76], v[22:23]
	v_mul_f64 v[59:60], v[75:76], v[20:21]
	s_waitcnt vmcnt(4) lgkmcnt(2)
	v_mul_f64 v[61:62], v[81:82], v[30:31]
	s_waitcnt vmcnt(0) lgkmcnt(1)
	v_mul_f64 v[65:66], v[87:88], v[34:35]
	v_mul_f64 v[67:68], v[87:88], v[32:33]
	s_clause 0x3
	buffer_load_dword v87, off, s[52:55], 0 offset:156
	buffer_load_dword v88, off, s[52:55], 0 offset:160
	;; [unrolled: 1-line block ×4, first 2 shown]
	v_mul_f64 v[63:64], v[81:82], v[28:29]
	s_clause 0x3
	buffer_load_dword v81, off, s[52:55], 0 offset:172
	buffer_load_dword v82, off, s[52:55], 0 offset:176
	;; [unrolled: 1-line block ×4, first 2 shown]
	global_store_dwordx4 v[40:41], v[0:3], off
	global_store_dwordx4 v[44:45], v[4:7], off
	v_fma_f64 v[4:5], v[77:78], v[24:25], v[48:49]
	v_fma_f64 v[6:7], v[77:78], v[26:27], -v[50:51]
	v_fma_f64 v[20:21], v[73:74], v[20:21], v[57:58]
	v_fma_f64 v[22:23], v[73:74], v[22:23], -v[59:60]
	v_mul_f64 v[0:1], v[16:17], s[0:1]
	v_mul_f64 v[2:3], v[18:19], s[0:1]
	v_add_co_u32 v40, vcc_lo, v44, s2
	v_add_co_ci_u32_e32 v41, vcc_lo, s10, v45, vcc_lo
	global_store_dwordx4 v[40:41], v[8:11], off
	v_fma_f64 v[16:17], v[79:80], v[28:29], v[61:62]
	v_fma_f64 v[24:25], v[85:86], v[32:33], v[65:66]
	v_fma_f64 v[26:27], v[85:86], v[34:35], -v[67:68]
	v_fma_f64 v[18:19], v[79:80], v[30:31], -v[63:64]
	v_mul_f64 v[4:5], v[4:5], s[0:1]
	v_mul_f64 v[6:7], v[6:7], s[0:1]
	;; [unrolled: 1-line block ×4, first 2 shown]
	s_waitcnt vmcnt(4)
	v_mul_f64 v[69:70], v[89:90], v[14:15]
	v_mul_f64 v[52:53], v[89:90], v[12:13]
	s_waitcnt vmcnt(0) lgkmcnt(0)
	v_mul_f64 v[42:43], v[83:84], v[38:39]
	v_mul_f64 v[46:47], v[83:84], v[36:37]
	v_fma_f64 v[28:29], v[87:88], v[12:13], v[69:70]
	v_fma_f64 v[30:31], v[87:88], v[14:15], -v[52:53]
	v_fma_f64 v[32:33], v[81:82], v[36:37], v[42:43]
	v_fma_f64 v[34:35], v[81:82], v[38:39], -v[46:47]
	v_add_co_u32 v36, vcc_lo, v40, s6
	v_add_co_ci_u32_e32 v37, vcc_lo, s5, v41, vcc_lo
	v_mul_f64 v[12:13], v[20:21], s[0:1]
	v_add_co_u32 v38, vcc_lo, v36, s2
	v_add_co_ci_u32_e32 v39, vcc_lo, s10, v37, vcc_lo
	v_mul_f64 v[14:15], v[22:23], s[0:1]
	;; [unrolled: 3-line block ×3, first 2 shown]
	v_mul_f64 v[22:23], v[26:27], s[0:1]
	global_store_dwordx4 v[36:37], v[0:3], off
	global_store_dwordx4 v[38:39], v[4:7], off
	v_mul_f64 v[24:25], v[28:29], s[0:1]
	v_mul_f64 v[26:27], v[30:31], s[0:1]
	;; [unrolled: 1-line block ×4, first 2 shown]
	v_add_co_u32 v32, vcc_lo, v42, s2
	v_add_co_ci_u32_e32 v33, vcc_lo, s10, v43, vcc_lo
	v_add_co_u32 v8, vcc_lo, v32, s6
	v_add_co_ci_u32_e32 v9, vcc_lo, s5, v33, vcc_lo
	;; [unrolled: 2-line block ×4, first 2 shown]
	global_store_dwordx4 v[42:43], v[12:15], off
	global_store_dwordx4 v[32:33], v[16:19], off
	;; [unrolled: 1-line block ×5, first 2 shown]
.LBB0_26:
	s_endpgm
	.section	.rodata,"a",@progbits
	.p2align	6, 0x0
	.amdhsa_kernel bluestein_single_back_len1170_dim1_dp_op_CI_CI
		.amdhsa_group_segment_fixed_size 18720
		.amdhsa_private_segment_fixed_size 456
		.amdhsa_kernarg_size 104
		.amdhsa_user_sgpr_count 6
		.amdhsa_user_sgpr_private_segment_buffer 1
		.amdhsa_user_sgpr_dispatch_ptr 0
		.amdhsa_user_sgpr_queue_ptr 0
		.amdhsa_user_sgpr_kernarg_segment_ptr 1
		.amdhsa_user_sgpr_dispatch_id 0
		.amdhsa_user_sgpr_flat_scratch_init 0
		.amdhsa_user_sgpr_private_segment_size 0
		.amdhsa_wavefront_size32 1
		.amdhsa_uses_dynamic_stack 0
		.amdhsa_system_sgpr_private_segment_wavefront_offset 1
		.amdhsa_system_sgpr_workgroup_id_x 1
		.amdhsa_system_sgpr_workgroup_id_y 0
		.amdhsa_system_sgpr_workgroup_id_z 0
		.amdhsa_system_sgpr_workgroup_info 0
		.amdhsa_system_vgpr_workitem_id 0
		.amdhsa_next_free_vgpr 256
		.amdhsa_next_free_sgpr 56
		.amdhsa_reserve_vcc 1
		.amdhsa_reserve_flat_scratch 0
		.amdhsa_float_round_mode_32 0
		.amdhsa_float_round_mode_16_64 0
		.amdhsa_float_denorm_mode_32 3
		.amdhsa_float_denorm_mode_16_64 3
		.amdhsa_dx10_clamp 1
		.amdhsa_ieee_mode 1
		.amdhsa_fp16_overflow 0
		.amdhsa_workgroup_processor_mode 1
		.amdhsa_memory_ordered 1
		.amdhsa_forward_progress 0
		.amdhsa_shared_vgpr_count 0
		.amdhsa_exception_fp_ieee_invalid_op 0
		.amdhsa_exception_fp_denorm_src 0
		.amdhsa_exception_fp_ieee_div_zero 0
		.amdhsa_exception_fp_ieee_overflow 0
		.amdhsa_exception_fp_ieee_underflow 0
		.amdhsa_exception_fp_ieee_inexact 0
		.amdhsa_exception_int_div_zero 0
	.end_amdhsa_kernel
	.text
.Lfunc_end0:
	.size	bluestein_single_back_len1170_dim1_dp_op_CI_CI, .Lfunc_end0-bluestein_single_back_len1170_dim1_dp_op_CI_CI
                                        ; -- End function
	.section	.AMDGPU.csdata,"",@progbits
; Kernel info:
; codeLenInByte = 23616
; NumSgprs: 58
; NumVgprs: 256
; ScratchSize: 456
; MemoryBound: 0
; FloatMode: 240
; IeeeMode: 1
; LDSByteSize: 18720 bytes/workgroup (compile time only)
; SGPRBlocks: 7
; VGPRBlocks: 31
; NumSGPRsForWavesPerEU: 58
; NumVGPRsForWavesPerEU: 256
; Occupancy: 4
; WaveLimiterHint : 1
; COMPUTE_PGM_RSRC2:SCRATCH_EN: 1
; COMPUTE_PGM_RSRC2:USER_SGPR: 6
; COMPUTE_PGM_RSRC2:TRAP_HANDLER: 0
; COMPUTE_PGM_RSRC2:TGID_X_EN: 1
; COMPUTE_PGM_RSRC2:TGID_Y_EN: 0
; COMPUTE_PGM_RSRC2:TGID_Z_EN: 0
; COMPUTE_PGM_RSRC2:TIDIG_COMP_CNT: 0
	.text
	.p2alignl 6, 3214868480
	.fill 48, 4, 3214868480
	.type	__hip_cuid_6ca35d8ed578daa3,@object ; @__hip_cuid_6ca35d8ed578daa3
	.section	.bss,"aw",@nobits
	.globl	__hip_cuid_6ca35d8ed578daa3
__hip_cuid_6ca35d8ed578daa3:
	.byte	0                               ; 0x0
	.size	__hip_cuid_6ca35d8ed578daa3, 1

	.ident	"AMD clang version 19.0.0git (https://github.com/RadeonOpenCompute/llvm-project roc-6.4.0 25133 c7fe45cf4b819c5991fe208aaa96edf142730f1d)"
	.section	".note.GNU-stack","",@progbits
	.addrsig
	.addrsig_sym __hip_cuid_6ca35d8ed578daa3
	.amdgpu_metadata
---
amdhsa.kernels:
  - .args:
      - .actual_access:  read_only
        .address_space:  global
        .offset:         0
        .size:           8
        .value_kind:     global_buffer
      - .actual_access:  read_only
        .address_space:  global
        .offset:         8
        .size:           8
        .value_kind:     global_buffer
      - .actual_access:  read_only
        .address_space:  global
        .offset:         16
        .size:           8
        .value_kind:     global_buffer
      - .actual_access:  read_only
        .address_space:  global
        .offset:         24
        .size:           8
        .value_kind:     global_buffer
      - .actual_access:  read_only
        .address_space:  global
        .offset:         32
        .size:           8
        .value_kind:     global_buffer
      - .offset:         40
        .size:           8
        .value_kind:     by_value
      - .address_space:  global
        .offset:         48
        .size:           8
        .value_kind:     global_buffer
      - .address_space:  global
        .offset:         56
        .size:           8
        .value_kind:     global_buffer
      - .address_space:  global
        .offset:         64
        .size:           8
        .value_kind:     global_buffer
      - .address_space:  global
        .offset:         72
        .size:           8
        .value_kind:     global_buffer
      - .offset:         80
        .size:           4
        .value_kind:     by_value
      - .address_space:  global
        .offset:         88
        .size:           8
        .value_kind:     global_buffer
      - .address_space:  global
        .offset:         96
        .size:           8
        .value_kind:     global_buffer
    .group_segment_fixed_size: 18720
    .kernarg_segment_align: 8
    .kernarg_segment_size: 104
    .language:       OpenCL C
    .language_version:
      - 2
      - 0
    .max_flat_workgroup_size: 117
    .name:           bluestein_single_back_len1170_dim1_dp_op_CI_CI
    .private_segment_fixed_size: 456
    .sgpr_count:     58
    .sgpr_spill_count: 0
    .symbol:         bluestein_single_back_len1170_dim1_dp_op_CI_CI.kd
    .uniform_work_group_size: 1
    .uses_dynamic_stack: false
    .vgpr_count:     256
    .vgpr_spill_count: 134
    .wavefront_size: 32
    .workgroup_processor_mode: 1
amdhsa.target:   amdgcn-amd-amdhsa--gfx1030
amdhsa.version:
  - 1
  - 2
...

	.end_amdgpu_metadata
